;; amdgpu-corpus repo=ROCm/rocSPARSE kind=compiled arch=gfx1030 opt=O3
	.amdgcn_target "amdgcn-amd-amdhsa--gfx1030"
	.amdhsa_code_object_version 6
	.section	.text._ZN9rocsparseL25kernel_correction_no_normILi1024ELi1EfiiEEvT3_T2_PKS2_S4_PKS1_PKT1_21rocsparse_index_base_S4_S4_S6_PS7_SA_S4_S4_S6_SB_SA_SB_,"axG",@progbits,_ZN9rocsparseL25kernel_correction_no_normILi1024ELi1EfiiEEvT3_T2_PKS2_S4_PKS1_PKT1_21rocsparse_index_base_S4_S4_S6_PS7_SA_S4_S4_S6_SB_SA_SB_,comdat
	.globl	_ZN9rocsparseL25kernel_correction_no_normILi1024ELi1EfiiEEvT3_T2_PKS2_S4_PKS1_PKT1_21rocsparse_index_base_S4_S4_S6_PS7_SA_S4_S4_S6_SB_SA_SB_ ; -- Begin function _ZN9rocsparseL25kernel_correction_no_normILi1024ELi1EfiiEEvT3_T2_PKS2_S4_PKS1_PKT1_21rocsparse_index_base_S4_S4_S6_PS7_SA_S4_S4_S6_SB_SA_SB_
	.p2align	8
	.type	_ZN9rocsparseL25kernel_correction_no_normILi1024ELi1EfiiEEvT3_T2_PKS2_S4_PKS1_PKT1_21rocsparse_index_base_S4_S4_S6_PS7_SA_S4_S4_S6_SB_SA_SB_,@function
_ZN9rocsparseL25kernel_correction_no_normILi1024ELi1EfiiEEvT3_T2_PKS2_S4_PKS1_PKT1_21rocsparse_index_base_S4_S4_S6_PS7_SA_S4_S4_S6_SB_SA_SB_: ; @_ZN9rocsparseL25kernel_correction_no_normILi1024ELi1EfiiEEvT3_T2_PKS2_S4_PKS1_PKT1_21rocsparse_index_base_S4_S4_S6_PS7_SA_S4_S4_S6_SB_SA_SB_
; %bb.0:
	s_load_dword s7, s[4:5], 0x0
	s_lshl_b32 s6, s6, 10
	s_mov_b32 s0, exec_lo
	v_or_b32_e32 v0, s6, v0
	s_waitcnt lgkmcnt(0)
	v_cmpx_gt_i32_e64 s7, v0
	s_cbranch_execz .LBB0_40
; %bb.1:
	s_addk_i32 s6, 0x400
	v_cmp_gt_u32_e32 vcc_lo, s6, v0
	s_and_b32 exec_lo, exec_lo, vcc_lo
	s_cbranch_execz .LBB0_40
; %bb.2:
	s_clause 0x6
	s_load_dwordx8 s[8:15], s[4:5], 0x58
	s_load_dwordx8 s[16:23], s[4:5], 0x30
	;; [unrolled: 1-line block ×3, first 2 shown]
	s_load_dword s33, s[4:5], 0x28
	s_load_dword s34, s[4:5], 0x50
	s_load_dwordx2 s[2:3], s[4:5], 0x80
	s_load_dword s4, s[4:5], 0x78
	v_mov_b32_e32 v2, 0
	s_mov_b32 s5, 0
	s_branch .LBB0_4
.LBB0_3:                                ;   in Loop: Header=BB0_4 Depth=1
	s_or_b32 exec_lo, exec_lo, s35
	v_add_nc_u32_e32 v0, 0x400, v0
	v_cmp_le_u32_e32 vcc_lo, s6, v0
	s_or_b32 s5, vcc_lo, s5
	s_andn2_b32 exec_lo, exec_lo, s5
	s_cbranch_execz .LBB0_40
.LBB0_4:                                ; =>This Loop Header: Depth=1
                                        ;     Child Loop BB0_8 Depth 2
                                        ;       Child Loop BB0_12 Depth 3
                                        ;       Child Loop BB0_26 Depth 3
	;; [unrolled: 1-line block ×3, first 2 shown]
	s_mov_b32 s35, exec_lo
	v_cmpx_gt_i32_e64 s7, v0
	s_cbranch_execz .LBB0_3
; %bb.5:                                ;   in Loop: Header=BB0_4 Depth=1
	v_ashrrev_i32_e32 v1, 31, v0
	v_lshlrev_b64 v[3:4], 2, v[0:1]
	s_waitcnt lgkmcnt(0)
	v_add_co_u32 v5, vcc_lo, s24, v3
	v_add_co_ci_u32_e64 v6, null, s25, v4, vcc_lo
	v_add_co_u32 v7, vcc_lo, s26, v3
	v_add_co_ci_u32_e64 v8, null, s27, v4, vcc_lo
	global_load_dword v1, v[5:6], off
	global_load_dword v5, v[7:8], off
	s_waitcnt vmcnt(0)
	v_cmp_lt_i32_e32 vcc_lo, v1, v5
	s_and_b32 exec_lo, exec_lo, vcc_lo
	s_cbranch_execz .LBB0_3
; %bb.6:                                ;   in Loop: Header=BB0_4 Depth=1
	v_add_co_u32 v6, vcc_lo, s16, v3
	v_add_co_ci_u32_e64 v7, null, s17, v4, vcc_lo
	v_add_co_u32 v3, vcc_lo, s18, v3
	v_add_co_ci_u32_e64 v4, null, s19, v4, vcc_lo
	global_load_dword v8, v[6:7], off
	v_subrev_nc_u32_e32 v17, s33, v5
	s_mov_b32 s36, 0
	global_load_dword v9, v[3:4], off
	s_waitcnt vmcnt(1)
	v_subrev_nc_u32_e32 v3, s34, v8
	s_waitcnt vmcnt(0)
	v_sub_nc_u32_e32 v18, v9, v8
	v_ashrrev_i32_e32 v4, 31, v3
	v_cmp_lt_i32_e64 s0, 0, v18
	v_lshlrev_b64 v[6:7], 2, v[3:4]
	v_subrev_nc_u32_e32 v4, s33, v1
	v_add_co_u32 v19, vcc_lo, s20, v6
	v_add_co_ci_u32_e64 v20, null, s21, v7, vcc_lo
	v_add_co_u32 v21, vcc_lo, s22, v6
	v_add_co_ci_u32_e64 v22, null, s23, v7, vcc_lo
	s_branch .LBB0_8
.LBB0_7:                                ;   in Loop: Header=BB0_8 Depth=2
	s_or_b32 exec_lo, exec_lo, s37
	v_add_nc_u32_e32 v4, 1, v4
	v_cmp_ge_i32_e32 vcc_lo, v4, v17
	s_or_b32 s36, vcc_lo, s36
	s_andn2_b32 exec_lo, exec_lo, s36
	s_cbranch_execz .LBB0_3
.LBB0_8:                                ;   Parent Loop BB0_4 Depth=1
                                        ; =>  This Loop Header: Depth=2
                                        ;       Child Loop BB0_12 Depth 3
                                        ;       Child Loop BB0_26 Depth 3
	;; [unrolled: 1-line block ×3, first 2 shown]
	v_ashrrev_i32_e32 v5, 31, v4
	v_mov_b32_e32 v24, 0
	v_lshlrev_b64 v[11:12], 2, v[4:5]
	v_add_co_u32 v5, vcc_lo, s28, v11
	v_add_co_ci_u32_e64 v6, null, s29, v12, vcc_lo
	global_load_dword v1, v[5:6], off
	s_waitcnt vmcnt(0)
	v_subrev_nc_u32_e32 v5, s33, v1
	v_ashrrev_i32_e32 v6, 31, v5
	v_lshlrev_b64 v[9:10], 2, v[5:6]
	v_add_co_u32 v6, vcc_lo, s8, v9
	v_add_co_ci_u32_e64 v7, null, s9, v10, vcc_lo
	v_add_co_u32 v13, vcc_lo, s10, v9
	v_add_co_ci_u32_e64 v14, null, s11, v10, vcc_lo
	global_load_dword v1, v[6:7], off
	global_load_dword v8, v[13:14], off
	v_mov_b32_e32 v7, 0
	s_waitcnt vmcnt(1)
	v_subrev_nc_u32_e32 v6, s4, v1
	s_waitcnt vmcnt(0)
	v_sub_nc_u32_e32 v23, v8, v1
	v_mov_b32_e32 v1, v7
	s_and_saveexec_b32 s37, s0
	s_cbranch_execz .LBB0_16
; %bb.9:                                ;   in Loop: Header=BB0_8 Depth=2
	v_ashrrev_i32_e32 v7, 31, v6
	v_mov_b32_e32 v24, 0
	v_mov_b32_e32 v1, 0
	s_mov_b32 s38, 0
                                        ; implicit-def: $sgpr39
	v_lshlrev_b64 v[7:8], 2, v[6:7]
	v_add_co_u32 v25, vcc_lo, s12, v7
	v_add_co_ci_u32_e64 v26, null, s13, v8, vcc_lo
	v_add_co_u32 v27, vcc_lo, s14, v7
	v_add_co_ci_u32_e64 v28, null, s15, v8, vcc_lo
	v_mov_b32_e32 v7, 0
	s_branch .LBB0_12
.LBB0_10:                               ;   in Loop: Header=BB0_12 Depth=3
	s_or_b32 exec_lo, exec_lo, s1
	v_cmp_le_i32_e32 vcc_lo, v8, v29
	v_cmp_ge_i32_e64 s1, v8, v29
	v_add_co_ci_u32_e64 v1, null, 0, v1, vcc_lo
	v_add_co_ci_u32_e64 v7, null, 0, v7, s1
	s_andn2_b32 s1, s39, exec_lo
	v_cmp_ge_i32_e32 vcc_lo, v1, v18
	s_and_b32 s39, vcc_lo, exec_lo
	s_or_b32 s39, s1, s39
.LBB0_11:                               ;   in Loop: Header=BB0_12 Depth=3
	s_or_b32 exec_lo, exec_lo, s40
	s_and_b32 s1, exec_lo, s39
	s_or_b32 s38, s1, s38
	s_andn2_b32 exec_lo, exec_lo, s38
	s_cbranch_execz .LBB0_15
.LBB0_12:                               ;   Parent Loop BB0_4 Depth=1
                                        ;     Parent Loop BB0_8 Depth=2
                                        ; =>    This Inner Loop Header: Depth=3
	s_or_b32 s39, s39, exec_lo
	s_mov_b32 s40, exec_lo
	v_cmpx_lt_i32_e64 v7, v23
	s_cbranch_execz .LBB0_11
; %bb.13:                               ;   in Loop: Header=BB0_12 Depth=3
	v_mov_b32_e32 v8, v2
	v_lshlrev_b64 v[15:16], 2, v[1:2]
	s_mov_b32 s1, exec_lo
	v_lshlrev_b64 v[13:14], 2, v[7:8]
	v_add_co_u32 v29, vcc_lo, v19, v15
	v_add_co_ci_u32_e64 v30, null, v20, v16, vcc_lo
	v_add_co_u32 v31, vcc_lo, v25, v13
	v_add_co_ci_u32_e64 v32, null, v26, v14, vcc_lo
	global_load_dword v8, v[29:30], off
	global_load_dword v29, v[31:32], off
	s_waitcnt vmcnt(1)
	v_subrev_nc_u32_e32 v8, s34, v8
	s_waitcnt vmcnt(0)
	v_subrev_nc_u32_e32 v29, s4, v29
	v_cmpx_eq_u32_e64 v8, v29
	s_cbranch_execz .LBB0_10
; %bb.14:                               ;   in Loop: Header=BB0_12 Depth=3
	v_add_co_u32 v15, vcc_lo, v21, v15
	v_add_co_ci_u32_e64 v16, null, v22, v16, vcc_lo
	v_add_co_u32 v13, vcc_lo, v27, v13
	v_add_co_ci_u32_e64 v14, null, v28, v14, vcc_lo
	global_load_dword v15, v[15:16], off
	global_load_dword v13, v[13:14], off
	s_waitcnt vmcnt(0)
	v_fmac_f32_e32 v24, v15, v13
	s_branch .LBB0_10
.LBB0_15:                               ;   in Loop: Header=BB0_8 Depth=2
	s_or_b32 exec_lo, exec_lo, s38
.LBB0_16:                               ;   in Loop: Header=BB0_8 Depth=2
	s_or_b32 exec_lo, exec_lo, s37
	v_add_co_u32 v11, vcc_lo, s30, v11
	v_add_co_ci_u32_e64 v12, null, s31, v12, vcc_lo
	v_cmp_le_i32_e64 s1, v0, v5
	s_mov_b32 s37, exec_lo
	global_load_dword v8, v[11:12], off
	s_waitcnt vmcnt(0)
	v_sub_f32_e32 v11, v8, v24
	v_cmpx_gt_i32_e64 v0, v5
	s_cbranch_execz .LBB0_18
; %bb.17:                               ;   in Loop: Header=BB0_8 Depth=2
	v_add_co_u32 v12, vcc_lo, s2, v9
	v_add_co_ci_u32_e64 v13, null, s3, v10, vcc_lo
	global_load_dword v8, v[12:13], off
	s_waitcnt vmcnt(0)
	v_div_scale_f32 v12, null, v8, v8, v11
	v_rcp_f32_e32 v13, v12
	v_fma_f32 v14, -v12, v13, 1.0
	v_fmac_f32_e32 v13, v14, v13
	v_div_scale_f32 v14, vcc_lo, v11, v8, v11
	v_mul_f32_e32 v15, v14, v13
	v_fma_f32 v16, -v12, v15, v14
	v_fmac_f32_e32 v15, v16, v13
	v_fma_f32 v12, -v12, v15, v14
	v_div_fmas_f32 v12, v12, v13, v15
	v_div_fixup_f32 v11, v12, v8, v11
.LBB0_18:                               ;   in Loop: Header=BB0_8 Depth=2
	s_or_b32 exec_lo, exec_lo, s37
	v_cmp_class_f32_e64 s38, v11, 0x1f8
	s_and_saveexec_b32 s37, s38
	s_cbranch_execz .LBB0_7
; %bb.19:                               ;   in Loop: Header=BB0_8 Depth=2
	s_and_saveexec_b32 s38, s1
	s_xor_b32 s1, exec_lo, s38
	s_cbranch_execz .LBB0_32
; %bb.20:                               ;   in Loop: Header=BB0_8 Depth=2
	s_mov_b32 s38, exec_lo
	v_cmpx_ge_i32_e64 v0, v5
	s_xor_b32 s38, exec_lo, s38
	s_cbranch_execz .LBB0_22
; %bb.21:                               ;   in Loop: Header=BB0_8 Depth=2
	v_add_co_u32 v5, vcc_lo, s2, v9
	v_add_co_ci_u32_e64 v6, null, s3, v10, vcc_lo
                                        ; implicit-def: $vgpr7
                                        ; implicit-def: $vgpr23
	global_store_dword v[5:6], v11, off
                                        ; implicit-def: $vgpr11
                                        ; implicit-def: $vgpr6
.LBB0_22:                               ;   in Loop: Header=BB0_8 Depth=2
	s_andn2_saveexec_b32 s38, s38
	s_cbranch_execz .LBB0_31
; %bb.23:                               ;   in Loop: Header=BB0_8 Depth=2
	s_mov_b32 s39, exec_lo
	v_cmpx_lt_i32_e64 v7, v23
	s_cbranch_execz .LBB0_30
; %bb.24:                               ;   in Loop: Header=BB0_8 Depth=2
	s_mov_b32 s40, 0
                                        ; implicit-def: $sgpr41
                                        ; implicit-def: $sgpr43
                                        ; implicit-def: $sgpr42
	s_inst_prefetch 0x1
	s_branch .LBB0_26
	.p2align	6
.LBB0_25:                               ;   in Loop: Header=BB0_26 Depth=3
	s_or_b32 exec_lo, exec_lo, s44
	s_and_b32 s44, exec_lo, s43
	s_or_b32 s40, s44, s40
	s_andn2_b32 s41, s41, exec_lo
	s_and_b32 s44, s42, exec_lo
	s_or_b32 s41, s41, s44
	s_andn2_b32 exec_lo, exec_lo, s40
	s_cbranch_execz .LBB0_28
.LBB0_26:                               ;   Parent Loop BB0_4 Depth=1
                                        ;     Parent Loop BB0_8 Depth=2
                                        ; =>    This Inner Loop Header: Depth=3
	v_add_nc_u32_e32 v8, v6, v7
	s_or_b32 s42, s42, exec_lo
	s_or_b32 s43, s43, exec_lo
	s_mov_b32 s44, exec_lo
	v_ashrrev_i32_e32 v9, 31, v8
	v_lshlrev_b64 v[8:9], 2, v[8:9]
	v_add_co_u32 v12, vcc_lo, s12, v8
	v_add_co_ci_u32_e64 v13, null, s13, v9, vcc_lo
	global_load_dword v1, v[12:13], off
	s_waitcnt vmcnt(0)
	v_subrev_nc_u32_e32 v1, s4, v1
	v_cmpx_ne_u32_e64 v1, v0
	s_cbranch_execz .LBB0_25
; %bb.27:                               ;   in Loop: Header=BB0_26 Depth=3
	v_add_nc_u32_e32 v7, 1, v7
	s_andn2_b32 s43, s43, exec_lo
	s_andn2_b32 s42, s42, exec_lo
	v_cmp_ge_i32_e32 vcc_lo, v7, v23
	s_and_b32 s45, vcc_lo, exec_lo
	s_or_b32 s43, s43, s45
	s_branch .LBB0_25
.LBB0_28:                               ;   in Loop: Header=BB0_8 Depth=2
	s_inst_prefetch 0x2
	s_or_b32 exec_lo, exec_lo, s40
	s_and_saveexec_b32 s40, s41
	s_xor_b32 s40, exec_lo, s40
	s_cbranch_execz .LBB0_30
; %bb.29:                               ;   in Loop: Header=BB0_8 Depth=2
	v_add_co_u32 v5, vcc_lo, s14, v8
	v_add_co_ci_u32_e64 v6, null, s15, v9, vcc_lo
	global_store_dword v[5:6], v11, off
.LBB0_30:                               ;   in Loop: Header=BB0_8 Depth=2
	s_or_b32 exec_lo, exec_lo, s39
.LBB0_31:                               ;   in Loop: Header=BB0_8 Depth=2
	s_or_b32 exec_lo, exec_lo, s38
                                        ; implicit-def: $vgpr11
                                        ; implicit-def: $vgpr5_vgpr6
.LBB0_32:                               ;   in Loop: Header=BB0_8 Depth=2
	s_andn2_saveexec_b32 s1, s1
	s_cbranch_execz .LBB0_7
; %bb.33:                               ;   in Loop: Header=BB0_8 Depth=2
	v_cmp_lt_i32_e32 vcc_lo, v1, v18
	s_and_b32 exec_lo, exec_lo, vcc_lo
	s_cbranch_execz .LBB0_7
; %bb.34:                               ;   in Loop: Header=BB0_8 Depth=2
	s_mov_b32 s1, 0
                                        ; implicit-def: $sgpr38
                                        ; implicit-def: $sgpr40
                                        ; implicit-def: $sgpr39
	s_inst_prefetch 0x1
	s_branch .LBB0_36
	.p2align	6
.LBB0_35:                               ;   in Loop: Header=BB0_36 Depth=3
	s_or_b32 exec_lo, exec_lo, s41
	s_and_b32 s41, exec_lo, s40
	s_or_b32 s1, s41, s1
	s_andn2_b32 s38, s38, exec_lo
	s_and_b32 s41, s39, exec_lo
	s_or_b32 s38, s38, s41
	s_andn2_b32 exec_lo, exec_lo, s1
	s_cbranch_execz .LBB0_38
.LBB0_36:                               ;   Parent Loop BB0_4 Depth=1
                                        ;     Parent Loop BB0_8 Depth=2
                                        ; =>    This Inner Loop Header: Depth=3
	v_add_nc_u32_e32 v6, v3, v1
	s_or_b32 s39, s39, exec_lo
	s_or_b32 s40, s40, exec_lo
	s_mov_b32 s41, exec_lo
	v_ashrrev_i32_e32 v7, 31, v6
	v_lshlrev_b64 v[6:7], 2, v[6:7]
	v_add_co_u32 v8, vcc_lo, s20, v6
	v_add_co_ci_u32_e64 v9, null, s21, v7, vcc_lo
	global_load_dword v8, v[8:9], off
	s_waitcnt vmcnt(0)
	v_subrev_nc_u32_e32 v8, s34, v8
	v_cmpx_ne_u32_e64 v8, v5
	s_cbranch_execz .LBB0_35
; %bb.37:                               ;   in Loop: Header=BB0_36 Depth=3
	v_add_nc_u32_e32 v1, 1, v1
	s_andn2_b32 s40, s40, exec_lo
	s_andn2_b32 s39, s39, exec_lo
	v_cmp_ge_i32_e32 vcc_lo, v1, v18
	s_and_b32 s42, vcc_lo, exec_lo
	s_or_b32 s40, s40, s42
	s_branch .LBB0_35
.LBB0_38:                               ;   in Loop: Header=BB0_8 Depth=2
	s_inst_prefetch 0x2
	s_or_b32 exec_lo, exec_lo, s1
	s_and_saveexec_b32 s1, s38
	s_xor_b32 s1, exec_lo, s1
	s_cbranch_execz .LBB0_7
; %bb.39:                               ;   in Loop: Header=BB0_8 Depth=2
	v_add_co_u32 v5, vcc_lo, s22, v6
	v_add_co_ci_u32_e64 v6, null, s23, v7, vcc_lo
	global_store_dword v[5:6], v11, off
	s_branch .LBB0_7
.LBB0_40:
	s_endpgm
	.section	.rodata,"a",@progbits
	.p2align	6, 0x0
	.amdhsa_kernel _ZN9rocsparseL25kernel_correction_no_normILi1024ELi1EfiiEEvT3_T2_PKS2_S4_PKS1_PKT1_21rocsparse_index_base_S4_S4_S6_PS7_SA_S4_S4_S6_SB_SA_SB_
		.amdhsa_group_segment_fixed_size 0
		.amdhsa_private_segment_fixed_size 0
		.amdhsa_kernarg_size 136
		.amdhsa_user_sgpr_count 6
		.amdhsa_user_sgpr_private_segment_buffer 1
		.amdhsa_user_sgpr_dispatch_ptr 0
		.amdhsa_user_sgpr_queue_ptr 0
		.amdhsa_user_sgpr_kernarg_segment_ptr 1
		.amdhsa_user_sgpr_dispatch_id 0
		.amdhsa_user_sgpr_flat_scratch_init 0
		.amdhsa_user_sgpr_private_segment_size 0
		.amdhsa_wavefront_size32 1
		.amdhsa_uses_dynamic_stack 0
		.amdhsa_system_sgpr_private_segment_wavefront_offset 0
		.amdhsa_system_sgpr_workgroup_id_x 1
		.amdhsa_system_sgpr_workgroup_id_y 0
		.amdhsa_system_sgpr_workgroup_id_z 0
		.amdhsa_system_sgpr_workgroup_info 0
		.amdhsa_system_vgpr_workitem_id 0
		.amdhsa_next_free_vgpr 33
		.amdhsa_next_free_sgpr 46
		.amdhsa_reserve_vcc 1
		.amdhsa_reserve_flat_scratch 0
		.amdhsa_float_round_mode_32 0
		.amdhsa_float_round_mode_16_64 0
		.amdhsa_float_denorm_mode_32 3
		.amdhsa_float_denorm_mode_16_64 3
		.amdhsa_dx10_clamp 1
		.amdhsa_ieee_mode 1
		.amdhsa_fp16_overflow 0
		.amdhsa_workgroup_processor_mode 1
		.amdhsa_memory_ordered 1
		.amdhsa_forward_progress 1
		.amdhsa_shared_vgpr_count 0
		.amdhsa_exception_fp_ieee_invalid_op 0
		.amdhsa_exception_fp_denorm_src 0
		.amdhsa_exception_fp_ieee_div_zero 0
		.amdhsa_exception_fp_ieee_overflow 0
		.amdhsa_exception_fp_ieee_underflow 0
		.amdhsa_exception_fp_ieee_inexact 0
		.amdhsa_exception_int_div_zero 0
	.end_amdhsa_kernel
	.section	.text._ZN9rocsparseL25kernel_correction_no_normILi1024ELi1EfiiEEvT3_T2_PKS2_S4_PKS1_PKT1_21rocsparse_index_base_S4_S4_S6_PS7_SA_S4_S4_S6_SB_SA_SB_,"axG",@progbits,_ZN9rocsparseL25kernel_correction_no_normILi1024ELi1EfiiEEvT3_T2_PKS2_S4_PKS1_PKT1_21rocsparse_index_base_S4_S4_S6_PS7_SA_S4_S4_S6_SB_SA_SB_,comdat
.Lfunc_end0:
	.size	_ZN9rocsparseL25kernel_correction_no_normILi1024ELi1EfiiEEvT3_T2_PKS2_S4_PKS1_PKT1_21rocsparse_index_base_S4_S4_S6_PS7_SA_S4_S4_S6_SB_SA_SB_, .Lfunc_end0-_ZN9rocsparseL25kernel_correction_no_normILi1024ELi1EfiiEEvT3_T2_PKS2_S4_PKS1_PKT1_21rocsparse_index_base_S4_S4_S6_PS7_SA_S4_S4_S6_SB_SA_SB_
                                        ; -- End function
	.set _ZN9rocsparseL25kernel_correction_no_normILi1024ELi1EfiiEEvT3_T2_PKS2_S4_PKS1_PKT1_21rocsparse_index_base_S4_S4_S6_PS7_SA_S4_S4_S6_SB_SA_SB_.num_vgpr, 33
	.set _ZN9rocsparseL25kernel_correction_no_normILi1024ELi1EfiiEEvT3_T2_PKS2_S4_PKS1_PKT1_21rocsparse_index_base_S4_S4_S6_PS7_SA_S4_S4_S6_SB_SA_SB_.num_agpr, 0
	.set _ZN9rocsparseL25kernel_correction_no_normILi1024ELi1EfiiEEvT3_T2_PKS2_S4_PKS1_PKT1_21rocsparse_index_base_S4_S4_S6_PS7_SA_S4_S4_S6_SB_SA_SB_.numbered_sgpr, 46
	.set _ZN9rocsparseL25kernel_correction_no_normILi1024ELi1EfiiEEvT3_T2_PKS2_S4_PKS1_PKT1_21rocsparse_index_base_S4_S4_S6_PS7_SA_S4_S4_S6_SB_SA_SB_.num_named_barrier, 0
	.set _ZN9rocsparseL25kernel_correction_no_normILi1024ELi1EfiiEEvT3_T2_PKS2_S4_PKS1_PKT1_21rocsparse_index_base_S4_S4_S6_PS7_SA_S4_S4_S6_SB_SA_SB_.private_seg_size, 0
	.set _ZN9rocsparseL25kernel_correction_no_normILi1024ELi1EfiiEEvT3_T2_PKS2_S4_PKS1_PKT1_21rocsparse_index_base_S4_S4_S6_PS7_SA_S4_S4_S6_SB_SA_SB_.uses_vcc, 1
	.set _ZN9rocsparseL25kernel_correction_no_normILi1024ELi1EfiiEEvT3_T2_PKS2_S4_PKS1_PKT1_21rocsparse_index_base_S4_S4_S6_PS7_SA_S4_S4_S6_SB_SA_SB_.uses_flat_scratch, 0
	.set _ZN9rocsparseL25kernel_correction_no_normILi1024ELi1EfiiEEvT3_T2_PKS2_S4_PKS1_PKT1_21rocsparse_index_base_S4_S4_S6_PS7_SA_S4_S4_S6_SB_SA_SB_.has_dyn_sized_stack, 0
	.set _ZN9rocsparseL25kernel_correction_no_normILi1024ELi1EfiiEEvT3_T2_PKS2_S4_PKS1_PKT1_21rocsparse_index_base_S4_S4_S6_PS7_SA_S4_S4_S6_SB_SA_SB_.has_recursion, 0
	.set _ZN9rocsparseL25kernel_correction_no_normILi1024ELi1EfiiEEvT3_T2_PKS2_S4_PKS1_PKT1_21rocsparse_index_base_S4_S4_S6_PS7_SA_S4_S4_S6_SB_SA_SB_.has_indirect_call, 0
	.section	.AMDGPU.csdata,"",@progbits
; Kernel info:
; codeLenInByte = 1592
; TotalNumSgprs: 48
; NumVgprs: 33
; ScratchSize: 0
; MemoryBound: 0
; FloatMode: 240
; IeeeMode: 1
; LDSByteSize: 0 bytes/workgroup (compile time only)
; SGPRBlocks: 0
; VGPRBlocks: 4
; NumSGPRsForWavesPerEU: 48
; NumVGPRsForWavesPerEU: 33
; Occupancy: 16
; WaveLimiterHint : 1
; COMPUTE_PGM_RSRC2:SCRATCH_EN: 0
; COMPUTE_PGM_RSRC2:USER_SGPR: 6
; COMPUTE_PGM_RSRC2:TRAP_HANDLER: 0
; COMPUTE_PGM_RSRC2:TGID_X_EN: 1
; COMPUTE_PGM_RSRC2:TGID_Y_EN: 0
; COMPUTE_PGM_RSRC2:TGID_Z_EN: 0
; COMPUTE_PGM_RSRC2:TIDIG_COMP_CNT: 0
	.section	.text._ZN9rocsparseL25kernel_correction_no_normILi1024ELi2EfiiEEvT3_T2_PKS2_S4_PKS1_PKT1_21rocsparse_index_base_S4_S4_S6_PS7_SA_S4_S4_S6_SB_SA_SB_,"axG",@progbits,_ZN9rocsparseL25kernel_correction_no_normILi1024ELi2EfiiEEvT3_T2_PKS2_S4_PKS1_PKT1_21rocsparse_index_base_S4_S4_S6_PS7_SA_S4_S4_S6_SB_SA_SB_,comdat
	.globl	_ZN9rocsparseL25kernel_correction_no_normILi1024ELi2EfiiEEvT3_T2_PKS2_S4_PKS1_PKT1_21rocsparse_index_base_S4_S4_S6_PS7_SA_S4_S4_S6_SB_SA_SB_ ; -- Begin function _ZN9rocsparseL25kernel_correction_no_normILi1024ELi2EfiiEEvT3_T2_PKS2_S4_PKS1_PKT1_21rocsparse_index_base_S4_S4_S6_PS7_SA_S4_S4_S6_SB_SA_SB_
	.p2align	8
	.type	_ZN9rocsparseL25kernel_correction_no_normILi1024ELi2EfiiEEvT3_T2_PKS2_S4_PKS1_PKT1_21rocsparse_index_base_S4_S4_S6_PS7_SA_S4_S4_S6_SB_SA_SB_,@function
_ZN9rocsparseL25kernel_correction_no_normILi1024ELi2EfiiEEvT3_T2_PKS2_S4_PKS1_PKT1_21rocsparse_index_base_S4_S4_S6_PS7_SA_S4_S4_S6_SB_SA_SB_: ; @_ZN9rocsparseL25kernel_correction_no_normILi1024ELi2EfiiEEvT3_T2_PKS2_S4_PKS1_PKT1_21rocsparse_index_base_S4_S4_S6_PS7_SA_S4_S4_S6_SB_SA_SB_
; %bb.0:
	s_load_dword s7, s[4:5], 0x0
	v_lshrrev_b32_e32 v1, 1, v0
	s_lshl_b32 s6, s6, 10
	s_mov_b32 s0, exec_lo
	v_or_b32_e32 v1, s6, v1
	s_waitcnt lgkmcnt(0)
	v_cmpx_gt_i32_e64 s7, v1
	s_cbranch_execz .LBB1_40
; %bb.1:
	s_addk_i32 s6, 0x400
	v_cmp_gt_u32_e32 vcc_lo, s6, v1
	s_and_b32 exec_lo, exec_lo, vcc_lo
	s_cbranch_execz .LBB1_40
; %bb.2:
	s_clause 0x6
	s_load_dword s33, s[4:5], 0x28
	s_load_dwordx8 s[8:15], s[4:5], 0x58
	s_load_dwordx8 s[16:23], s[4:5], 0x30
	;; [unrolled: 1-line block ×3, first 2 shown]
	s_load_dword s34, s[4:5], 0x50
	s_load_dwordx2 s[2:3], s[4:5], 0x80
	s_load_dword s4, s[4:5], 0x78
	v_and_b32_e32 v0, 1, v0
	v_mov_b32_e32 v3, 0
	s_mov_b32 s5, 0
	s_waitcnt lgkmcnt(0)
	v_subrev_nc_u32_e32 v0, s33, v0
	s_branch .LBB1_4
.LBB1_3:                                ;   in Loop: Header=BB1_4 Depth=1
	s_or_b32 exec_lo, exec_lo, s35
	v_add_nc_u32_e32 v1, 0x200, v1
	v_cmp_le_u32_e32 vcc_lo, s6, v1
	s_or_b32 s5, vcc_lo, s5
	s_andn2_b32 exec_lo, exec_lo, s5
	s_cbranch_execz .LBB1_40
.LBB1_4:                                ; =>This Loop Header: Depth=1
                                        ;     Child Loop BB1_8 Depth 2
                                        ;       Child Loop BB1_12 Depth 3
                                        ;       Child Loop BB1_26 Depth 3
	;; [unrolled: 1-line block ×3, first 2 shown]
	s_mov_b32 s35, exec_lo
	v_cmpx_gt_i32_e64 s7, v1
	s_cbranch_execz .LBB1_3
; %bb.5:                                ;   in Loop: Header=BB1_4 Depth=1
	v_ashrrev_i32_e32 v2, 31, v1
	v_lshlrev_b64 v[5:6], 2, v[1:2]
	v_add_co_u32 v7, vcc_lo, s24, v5
	v_add_co_ci_u32_e64 v8, null, s25, v6, vcc_lo
	v_add_co_u32 v9, vcc_lo, s26, v5
	v_add_co_ci_u32_e64 v10, null, s27, v6, vcc_lo
	global_load_dword v2, v[7:8], off
	global_load_dword v7, v[9:10], off
	s_waitcnt vmcnt(1)
	v_add_nc_u32_e32 v4, v0, v2
	s_waitcnt vmcnt(0)
	v_subrev_nc_u32_e32 v19, s33, v7
	v_cmp_lt_i32_e32 vcc_lo, v4, v19
	s_and_b32 exec_lo, exec_lo, vcc_lo
	s_cbranch_execz .LBB1_3
; %bb.6:                                ;   in Loop: Header=BB1_4 Depth=1
	v_add_co_u32 v7, vcc_lo, s16, v5
	v_add_co_ci_u32_e64 v8, null, s17, v6, vcc_lo
	v_add_co_u32 v5, vcc_lo, s18, v5
	v_add_co_ci_u32_e64 v6, null, s19, v6, vcc_lo
	global_load_dword v2, v[7:8], off
	s_mov_b32 s36, 0
	global_load_dword v5, v[5:6], off
	s_waitcnt vmcnt(1)
	v_subrev_nc_u32_e32 v6, s34, v2
	s_waitcnt vmcnt(0)
	v_sub_nc_u32_e32 v20, v5, v2
	v_ashrrev_i32_e32 v7, 31, v6
	v_cmp_lt_i32_e64 s0, 0, v20
	v_lshlrev_b64 v[7:8], 2, v[6:7]
	v_add_co_u32 v21, vcc_lo, s20, v7
	v_add_co_ci_u32_e64 v22, null, s21, v8, vcc_lo
	v_add_co_u32 v23, vcc_lo, s22, v7
	v_add_co_ci_u32_e64 v24, null, s23, v8, vcc_lo
	s_branch .LBB1_8
.LBB1_7:                                ;   in Loop: Header=BB1_8 Depth=2
	s_or_b32 exec_lo, exec_lo, s37
	v_add_nc_u32_e32 v4, 2, v4
	v_cmp_ge_i32_e32 vcc_lo, v4, v19
	s_or_b32 s36, vcc_lo, s36
	s_andn2_b32 exec_lo, exec_lo, s36
	s_cbranch_execz .LBB1_3
.LBB1_8:                                ;   Parent Loop BB1_4 Depth=1
                                        ; =>  This Loop Header: Depth=2
                                        ;       Child Loop BB1_12 Depth 3
                                        ;       Child Loop BB1_26 Depth 3
	;; [unrolled: 1-line block ×3, first 2 shown]
	v_ashrrev_i32_e32 v5, 31, v4
	v_mov_b32_e32 v25, 0
	v_lshlrev_b64 v[13:14], 2, v[4:5]
	v_add_co_u32 v7, vcc_lo, s28, v13
	v_add_co_ci_u32_e64 v8, null, s29, v14, vcc_lo
	global_load_dword v2, v[7:8], off
	s_waitcnt vmcnt(0)
	v_subrev_nc_u32_e32 v7, s33, v2
	v_ashrrev_i32_e32 v8, 31, v7
	v_lshlrev_b64 v[11:12], 2, v[7:8]
	v_add_co_u32 v8, vcc_lo, s8, v11
	v_add_co_ci_u32_e64 v9, null, s9, v12, vcc_lo
	v_add_co_u32 v15, vcc_lo, s10, v11
	v_add_co_ci_u32_e64 v16, null, s11, v12, vcc_lo
	global_load_dword v2, v[8:9], off
	global_load_dword v5, v[15:16], off
	v_mov_b32_e32 v9, 0
	s_waitcnt vmcnt(1)
	v_subrev_nc_u32_e32 v8, s4, v2
	s_waitcnt vmcnt(0)
	v_sub_nc_u32_e32 v5, v5, v2
	v_mov_b32_e32 v2, v9
	s_and_saveexec_b32 s37, s0
	s_cbranch_execz .LBB1_16
; %bb.9:                                ;   in Loop: Header=BB1_8 Depth=2
	v_ashrrev_i32_e32 v9, 31, v8
	v_mov_b32_e32 v25, 0
	v_mov_b32_e32 v2, 0
	s_mov_b32 s38, 0
                                        ; implicit-def: $sgpr39
	v_lshlrev_b64 v[9:10], 2, v[8:9]
	v_add_co_u32 v26, vcc_lo, s12, v9
	v_add_co_ci_u32_e64 v27, null, s13, v10, vcc_lo
	v_add_co_u32 v28, vcc_lo, s14, v9
	v_add_co_ci_u32_e64 v29, null, s15, v10, vcc_lo
	v_mov_b32_e32 v9, 0
	s_branch .LBB1_12
.LBB1_10:                               ;   in Loop: Header=BB1_12 Depth=3
	s_or_b32 exec_lo, exec_lo, s1
	v_cmp_le_i32_e32 vcc_lo, v10, v30
	v_cmp_ge_i32_e64 s1, v10, v30
	v_add_co_ci_u32_e64 v2, null, 0, v2, vcc_lo
	v_add_co_ci_u32_e64 v9, null, 0, v9, s1
	s_andn2_b32 s1, s39, exec_lo
	v_cmp_ge_i32_e32 vcc_lo, v2, v20
	s_and_b32 s39, vcc_lo, exec_lo
	s_or_b32 s39, s1, s39
.LBB1_11:                               ;   in Loop: Header=BB1_12 Depth=3
	s_or_b32 exec_lo, exec_lo, s40
	s_and_b32 s1, exec_lo, s39
	s_or_b32 s38, s1, s38
	s_andn2_b32 exec_lo, exec_lo, s38
	s_cbranch_execz .LBB1_15
.LBB1_12:                               ;   Parent Loop BB1_4 Depth=1
                                        ;     Parent Loop BB1_8 Depth=2
                                        ; =>    This Inner Loop Header: Depth=3
	s_or_b32 s39, s39, exec_lo
	s_mov_b32 s40, exec_lo
	v_cmpx_lt_i32_e64 v9, v5
	s_cbranch_execz .LBB1_11
; %bb.13:                               ;   in Loop: Header=BB1_12 Depth=3
	v_mov_b32_e32 v10, v3
	v_lshlrev_b64 v[17:18], 2, v[2:3]
	s_mov_b32 s1, exec_lo
	v_lshlrev_b64 v[15:16], 2, v[9:10]
	v_add_co_u32 v30, vcc_lo, v21, v17
	v_add_co_ci_u32_e64 v31, null, v22, v18, vcc_lo
	v_add_co_u32 v32, vcc_lo, v26, v15
	v_add_co_ci_u32_e64 v33, null, v27, v16, vcc_lo
	global_load_dword v10, v[30:31], off
	global_load_dword v30, v[32:33], off
	s_waitcnt vmcnt(1)
	v_subrev_nc_u32_e32 v10, s34, v10
	s_waitcnt vmcnt(0)
	v_subrev_nc_u32_e32 v30, s4, v30
	v_cmpx_eq_u32_e64 v10, v30
	s_cbranch_execz .LBB1_10
; %bb.14:                               ;   in Loop: Header=BB1_12 Depth=3
	v_add_co_u32 v17, vcc_lo, v23, v17
	v_add_co_ci_u32_e64 v18, null, v24, v18, vcc_lo
	v_add_co_u32 v15, vcc_lo, v28, v15
	v_add_co_ci_u32_e64 v16, null, v29, v16, vcc_lo
	global_load_dword v17, v[17:18], off
	global_load_dword v15, v[15:16], off
	s_waitcnt vmcnt(0)
	v_fmac_f32_e32 v25, v17, v15
	s_branch .LBB1_10
.LBB1_15:                               ;   in Loop: Header=BB1_8 Depth=2
	s_or_b32 exec_lo, exec_lo, s38
.LBB1_16:                               ;   in Loop: Header=BB1_8 Depth=2
	s_or_b32 exec_lo, exec_lo, s37
	v_add_co_u32 v13, vcc_lo, s30, v13
	v_add_co_ci_u32_e64 v14, null, s31, v14, vcc_lo
	v_cmp_le_i32_e64 s1, v1, v7
	s_mov_b32 s37, exec_lo
	global_load_dword v10, v[13:14], off
	s_waitcnt vmcnt(0)
	v_sub_f32_e32 v13, v10, v25
	v_cmpx_gt_i32_e64 v1, v7
	s_cbranch_execz .LBB1_18
; %bb.17:                               ;   in Loop: Header=BB1_8 Depth=2
	v_add_co_u32 v14, vcc_lo, s2, v11
	v_add_co_ci_u32_e64 v15, null, s3, v12, vcc_lo
	global_load_dword v10, v[14:15], off
	s_waitcnt vmcnt(0)
	v_div_scale_f32 v14, null, v10, v10, v13
	v_rcp_f32_e32 v15, v14
	v_fma_f32 v16, -v14, v15, 1.0
	v_fmac_f32_e32 v15, v16, v15
	v_div_scale_f32 v16, vcc_lo, v13, v10, v13
	v_mul_f32_e32 v17, v16, v15
	v_fma_f32 v18, -v14, v17, v16
	v_fmac_f32_e32 v17, v18, v15
	v_fma_f32 v14, -v14, v17, v16
	v_div_fmas_f32 v14, v14, v15, v17
	v_div_fixup_f32 v13, v14, v10, v13
.LBB1_18:                               ;   in Loop: Header=BB1_8 Depth=2
	s_or_b32 exec_lo, exec_lo, s37
	v_cmp_class_f32_e64 s38, v13, 0x1f8
	s_and_saveexec_b32 s37, s38
	s_cbranch_execz .LBB1_7
; %bb.19:                               ;   in Loop: Header=BB1_8 Depth=2
	s_and_saveexec_b32 s38, s1
	s_xor_b32 s1, exec_lo, s38
	s_cbranch_execz .LBB1_32
; %bb.20:                               ;   in Loop: Header=BB1_8 Depth=2
	s_mov_b32 s38, exec_lo
	v_cmpx_ge_i32_e64 v1, v7
	s_xor_b32 s38, exec_lo, s38
	s_cbranch_execz .LBB1_22
; %bb.21:                               ;   in Loop: Header=BB1_8 Depth=2
	v_add_co_u32 v7, vcc_lo, s2, v11
	v_add_co_ci_u32_e64 v8, null, s3, v12, vcc_lo
                                        ; implicit-def: $vgpr9
                                        ; implicit-def: $vgpr5
	global_store_dword v[7:8], v13, off
                                        ; implicit-def: $vgpr13
                                        ; implicit-def: $vgpr8
.LBB1_22:                               ;   in Loop: Header=BB1_8 Depth=2
	s_andn2_saveexec_b32 s38, s38
	s_cbranch_execz .LBB1_31
; %bb.23:                               ;   in Loop: Header=BB1_8 Depth=2
	s_mov_b32 s39, exec_lo
	v_cmpx_lt_i32_e64 v9, v5
	s_cbranch_execz .LBB1_30
; %bb.24:                               ;   in Loop: Header=BB1_8 Depth=2
	s_mov_b32 s40, 0
                                        ; implicit-def: $sgpr41
                                        ; implicit-def: $sgpr43
                                        ; implicit-def: $sgpr42
	s_inst_prefetch 0x1
	s_branch .LBB1_26
	.p2align	6
.LBB1_25:                               ;   in Loop: Header=BB1_26 Depth=3
	s_or_b32 exec_lo, exec_lo, s44
	s_and_b32 s44, exec_lo, s43
	s_or_b32 s40, s44, s40
	s_andn2_b32 s41, s41, exec_lo
	s_and_b32 s44, s42, exec_lo
	s_or_b32 s41, s41, s44
	s_andn2_b32 exec_lo, exec_lo, s40
	s_cbranch_execz .LBB1_28
.LBB1_26:                               ;   Parent Loop BB1_4 Depth=1
                                        ;     Parent Loop BB1_8 Depth=2
                                        ; =>    This Inner Loop Header: Depth=3
	v_add_nc_u32_e32 v10, v8, v9
	s_or_b32 s42, s42, exec_lo
	s_or_b32 s43, s43, exec_lo
	s_mov_b32 s44, exec_lo
	v_ashrrev_i32_e32 v11, 31, v10
	v_lshlrev_b64 v[10:11], 2, v[10:11]
	v_add_co_u32 v14, vcc_lo, s12, v10
	v_add_co_ci_u32_e64 v15, null, s13, v11, vcc_lo
	global_load_dword v2, v[14:15], off
	s_waitcnt vmcnt(0)
	v_subrev_nc_u32_e32 v2, s4, v2
	v_cmpx_ne_u32_e64 v2, v1
	s_cbranch_execz .LBB1_25
; %bb.27:                               ;   in Loop: Header=BB1_26 Depth=3
	v_add_nc_u32_e32 v9, 1, v9
	s_andn2_b32 s43, s43, exec_lo
	s_andn2_b32 s42, s42, exec_lo
	v_cmp_ge_i32_e32 vcc_lo, v9, v5
	s_and_b32 s45, vcc_lo, exec_lo
	s_or_b32 s43, s43, s45
	s_branch .LBB1_25
.LBB1_28:                               ;   in Loop: Header=BB1_8 Depth=2
	s_inst_prefetch 0x2
	s_or_b32 exec_lo, exec_lo, s40
	s_and_saveexec_b32 s40, s41
	s_xor_b32 s40, exec_lo, s40
	s_cbranch_execz .LBB1_30
; %bb.29:                               ;   in Loop: Header=BB1_8 Depth=2
	v_add_co_u32 v7, vcc_lo, s14, v10
	v_add_co_ci_u32_e64 v8, null, s15, v11, vcc_lo
	global_store_dword v[7:8], v13, off
.LBB1_30:                               ;   in Loop: Header=BB1_8 Depth=2
	s_or_b32 exec_lo, exec_lo, s39
.LBB1_31:                               ;   in Loop: Header=BB1_8 Depth=2
	s_or_b32 exec_lo, exec_lo, s38
                                        ; implicit-def: $vgpr13
                                        ; implicit-def: $vgpr7_vgpr8
.LBB1_32:                               ;   in Loop: Header=BB1_8 Depth=2
	s_andn2_saveexec_b32 s1, s1
	s_cbranch_execz .LBB1_7
; %bb.33:                               ;   in Loop: Header=BB1_8 Depth=2
	v_cmp_lt_i32_e32 vcc_lo, v2, v20
	s_and_b32 exec_lo, exec_lo, vcc_lo
	s_cbranch_execz .LBB1_7
; %bb.34:                               ;   in Loop: Header=BB1_8 Depth=2
	s_mov_b32 s1, 0
                                        ; implicit-def: $sgpr38
                                        ; implicit-def: $sgpr40
                                        ; implicit-def: $sgpr39
	s_inst_prefetch 0x1
	s_branch .LBB1_36
	.p2align	6
.LBB1_35:                               ;   in Loop: Header=BB1_36 Depth=3
	s_or_b32 exec_lo, exec_lo, s41
	s_and_b32 s41, exec_lo, s40
	s_or_b32 s1, s41, s1
	s_andn2_b32 s38, s38, exec_lo
	s_and_b32 s41, s39, exec_lo
	s_or_b32 s38, s38, s41
	s_andn2_b32 exec_lo, exec_lo, s1
	s_cbranch_execz .LBB1_38
.LBB1_36:                               ;   Parent Loop BB1_4 Depth=1
                                        ;     Parent Loop BB1_8 Depth=2
                                        ; =>    This Inner Loop Header: Depth=3
	v_add_nc_u32_e32 v8, v6, v2
	s_or_b32 s39, s39, exec_lo
	s_or_b32 s40, s40, exec_lo
	s_mov_b32 s41, exec_lo
	v_ashrrev_i32_e32 v9, 31, v8
	v_lshlrev_b64 v[8:9], 2, v[8:9]
	v_add_co_u32 v10, vcc_lo, s20, v8
	v_add_co_ci_u32_e64 v11, null, s21, v9, vcc_lo
	global_load_dword v5, v[10:11], off
	s_waitcnt vmcnt(0)
	v_subrev_nc_u32_e32 v5, s34, v5
	v_cmpx_ne_u32_e64 v5, v7
	s_cbranch_execz .LBB1_35
; %bb.37:                               ;   in Loop: Header=BB1_36 Depth=3
	v_add_nc_u32_e32 v2, 1, v2
	s_andn2_b32 s40, s40, exec_lo
	s_andn2_b32 s39, s39, exec_lo
	v_cmp_ge_i32_e32 vcc_lo, v2, v20
	s_and_b32 s42, vcc_lo, exec_lo
	s_or_b32 s40, s40, s42
	s_branch .LBB1_35
.LBB1_38:                               ;   in Loop: Header=BB1_8 Depth=2
	s_inst_prefetch 0x2
	s_or_b32 exec_lo, exec_lo, s1
	s_and_saveexec_b32 s1, s38
	s_xor_b32 s1, exec_lo, s1
	s_cbranch_execz .LBB1_7
; %bb.39:                               ;   in Loop: Header=BB1_8 Depth=2
	v_add_co_u32 v7, vcc_lo, s22, v8
	v_add_co_ci_u32_e64 v8, null, s23, v9, vcc_lo
	global_store_dword v[7:8], v13, off
	s_branch .LBB1_7
.LBB1_40:
	s_endpgm
	.section	.rodata,"a",@progbits
	.p2align	6, 0x0
	.amdhsa_kernel _ZN9rocsparseL25kernel_correction_no_normILi1024ELi2EfiiEEvT3_T2_PKS2_S4_PKS1_PKT1_21rocsparse_index_base_S4_S4_S6_PS7_SA_S4_S4_S6_SB_SA_SB_
		.amdhsa_group_segment_fixed_size 0
		.amdhsa_private_segment_fixed_size 0
		.amdhsa_kernarg_size 136
		.amdhsa_user_sgpr_count 6
		.amdhsa_user_sgpr_private_segment_buffer 1
		.amdhsa_user_sgpr_dispatch_ptr 0
		.amdhsa_user_sgpr_queue_ptr 0
		.amdhsa_user_sgpr_kernarg_segment_ptr 1
		.amdhsa_user_sgpr_dispatch_id 0
		.amdhsa_user_sgpr_flat_scratch_init 0
		.amdhsa_user_sgpr_private_segment_size 0
		.amdhsa_wavefront_size32 1
		.amdhsa_uses_dynamic_stack 0
		.amdhsa_system_sgpr_private_segment_wavefront_offset 0
		.amdhsa_system_sgpr_workgroup_id_x 1
		.amdhsa_system_sgpr_workgroup_id_y 0
		.amdhsa_system_sgpr_workgroup_id_z 0
		.amdhsa_system_sgpr_workgroup_info 0
		.amdhsa_system_vgpr_workitem_id 0
		.amdhsa_next_free_vgpr 34
		.amdhsa_next_free_sgpr 46
		.amdhsa_reserve_vcc 1
		.amdhsa_reserve_flat_scratch 0
		.amdhsa_float_round_mode_32 0
		.amdhsa_float_round_mode_16_64 0
		.amdhsa_float_denorm_mode_32 3
		.amdhsa_float_denorm_mode_16_64 3
		.amdhsa_dx10_clamp 1
		.amdhsa_ieee_mode 1
		.amdhsa_fp16_overflow 0
		.amdhsa_workgroup_processor_mode 1
		.amdhsa_memory_ordered 1
		.amdhsa_forward_progress 1
		.amdhsa_shared_vgpr_count 0
		.amdhsa_exception_fp_ieee_invalid_op 0
		.amdhsa_exception_fp_denorm_src 0
		.amdhsa_exception_fp_ieee_div_zero 0
		.amdhsa_exception_fp_ieee_overflow 0
		.amdhsa_exception_fp_ieee_underflow 0
		.amdhsa_exception_fp_ieee_inexact 0
		.amdhsa_exception_int_div_zero 0
	.end_amdhsa_kernel
	.section	.text._ZN9rocsparseL25kernel_correction_no_normILi1024ELi2EfiiEEvT3_T2_PKS2_S4_PKS1_PKT1_21rocsparse_index_base_S4_S4_S6_PS7_SA_S4_S4_S6_SB_SA_SB_,"axG",@progbits,_ZN9rocsparseL25kernel_correction_no_normILi1024ELi2EfiiEEvT3_T2_PKS2_S4_PKS1_PKT1_21rocsparse_index_base_S4_S4_S6_PS7_SA_S4_S4_S6_SB_SA_SB_,comdat
.Lfunc_end1:
	.size	_ZN9rocsparseL25kernel_correction_no_normILi1024ELi2EfiiEEvT3_T2_PKS2_S4_PKS1_PKT1_21rocsparse_index_base_S4_S4_S6_PS7_SA_S4_S4_S6_SB_SA_SB_, .Lfunc_end1-_ZN9rocsparseL25kernel_correction_no_normILi1024ELi2EfiiEEvT3_T2_PKS2_S4_PKS1_PKT1_21rocsparse_index_base_S4_S4_S6_PS7_SA_S4_S4_S6_SB_SA_SB_
                                        ; -- End function
	.set _ZN9rocsparseL25kernel_correction_no_normILi1024ELi2EfiiEEvT3_T2_PKS2_S4_PKS1_PKT1_21rocsparse_index_base_S4_S4_S6_PS7_SA_S4_S4_S6_SB_SA_SB_.num_vgpr, 34
	.set _ZN9rocsparseL25kernel_correction_no_normILi1024ELi2EfiiEEvT3_T2_PKS2_S4_PKS1_PKT1_21rocsparse_index_base_S4_S4_S6_PS7_SA_S4_S4_S6_SB_SA_SB_.num_agpr, 0
	.set _ZN9rocsparseL25kernel_correction_no_normILi1024ELi2EfiiEEvT3_T2_PKS2_S4_PKS1_PKT1_21rocsparse_index_base_S4_S4_S6_PS7_SA_S4_S4_S6_SB_SA_SB_.numbered_sgpr, 46
	.set _ZN9rocsparseL25kernel_correction_no_normILi1024ELi2EfiiEEvT3_T2_PKS2_S4_PKS1_PKT1_21rocsparse_index_base_S4_S4_S6_PS7_SA_S4_S4_S6_SB_SA_SB_.num_named_barrier, 0
	.set _ZN9rocsparseL25kernel_correction_no_normILi1024ELi2EfiiEEvT3_T2_PKS2_S4_PKS1_PKT1_21rocsparse_index_base_S4_S4_S6_PS7_SA_S4_S4_S6_SB_SA_SB_.private_seg_size, 0
	.set _ZN9rocsparseL25kernel_correction_no_normILi1024ELi2EfiiEEvT3_T2_PKS2_S4_PKS1_PKT1_21rocsparse_index_base_S4_S4_S6_PS7_SA_S4_S4_S6_SB_SA_SB_.uses_vcc, 1
	.set _ZN9rocsparseL25kernel_correction_no_normILi1024ELi2EfiiEEvT3_T2_PKS2_S4_PKS1_PKT1_21rocsparse_index_base_S4_S4_S6_PS7_SA_S4_S4_S6_SB_SA_SB_.uses_flat_scratch, 0
	.set _ZN9rocsparseL25kernel_correction_no_normILi1024ELi2EfiiEEvT3_T2_PKS2_S4_PKS1_PKT1_21rocsparse_index_base_S4_S4_S6_PS7_SA_S4_S4_S6_SB_SA_SB_.has_dyn_sized_stack, 0
	.set _ZN9rocsparseL25kernel_correction_no_normILi1024ELi2EfiiEEvT3_T2_PKS2_S4_PKS1_PKT1_21rocsparse_index_base_S4_S4_S6_PS7_SA_S4_S4_S6_SB_SA_SB_.has_recursion, 0
	.set _ZN9rocsparseL25kernel_correction_no_normILi1024ELi2EfiiEEvT3_T2_PKS2_S4_PKS1_PKT1_21rocsparse_index_base_S4_S4_S6_PS7_SA_S4_S4_S6_SB_SA_SB_.has_indirect_call, 0
	.section	.AMDGPU.csdata,"",@progbits
; Kernel info:
; codeLenInByte = 1592
; TotalNumSgprs: 48
; NumVgprs: 34
; ScratchSize: 0
; MemoryBound: 0
; FloatMode: 240
; IeeeMode: 1
; LDSByteSize: 0 bytes/workgroup (compile time only)
; SGPRBlocks: 0
; VGPRBlocks: 4
; NumSGPRsForWavesPerEU: 48
; NumVGPRsForWavesPerEU: 34
; Occupancy: 16
; WaveLimiterHint : 1
; COMPUTE_PGM_RSRC2:SCRATCH_EN: 0
; COMPUTE_PGM_RSRC2:USER_SGPR: 6
; COMPUTE_PGM_RSRC2:TRAP_HANDLER: 0
; COMPUTE_PGM_RSRC2:TGID_X_EN: 1
; COMPUTE_PGM_RSRC2:TGID_Y_EN: 0
; COMPUTE_PGM_RSRC2:TGID_Z_EN: 0
; COMPUTE_PGM_RSRC2:TIDIG_COMP_CNT: 0
	.section	.text._ZN9rocsparseL25kernel_correction_no_normILi1024ELi4EfiiEEvT3_T2_PKS2_S4_PKS1_PKT1_21rocsparse_index_base_S4_S4_S6_PS7_SA_S4_S4_S6_SB_SA_SB_,"axG",@progbits,_ZN9rocsparseL25kernel_correction_no_normILi1024ELi4EfiiEEvT3_T2_PKS2_S4_PKS1_PKT1_21rocsparse_index_base_S4_S4_S6_PS7_SA_S4_S4_S6_SB_SA_SB_,comdat
	.globl	_ZN9rocsparseL25kernel_correction_no_normILi1024ELi4EfiiEEvT3_T2_PKS2_S4_PKS1_PKT1_21rocsparse_index_base_S4_S4_S6_PS7_SA_S4_S4_S6_SB_SA_SB_ ; -- Begin function _ZN9rocsparseL25kernel_correction_no_normILi1024ELi4EfiiEEvT3_T2_PKS2_S4_PKS1_PKT1_21rocsparse_index_base_S4_S4_S6_PS7_SA_S4_S4_S6_SB_SA_SB_
	.p2align	8
	.type	_ZN9rocsparseL25kernel_correction_no_normILi1024ELi4EfiiEEvT3_T2_PKS2_S4_PKS1_PKT1_21rocsparse_index_base_S4_S4_S6_PS7_SA_S4_S4_S6_SB_SA_SB_,@function
_ZN9rocsparseL25kernel_correction_no_normILi1024ELi4EfiiEEvT3_T2_PKS2_S4_PKS1_PKT1_21rocsparse_index_base_S4_S4_S6_PS7_SA_S4_S4_S6_SB_SA_SB_: ; @_ZN9rocsparseL25kernel_correction_no_normILi1024ELi4EfiiEEvT3_T2_PKS2_S4_PKS1_PKT1_21rocsparse_index_base_S4_S4_S6_PS7_SA_S4_S4_S6_SB_SA_SB_
; %bb.0:
	s_load_dword s7, s[4:5], 0x0
	v_lshrrev_b32_e32 v1, 2, v0
	s_lshl_b32 s6, s6, 10
	s_mov_b32 s0, exec_lo
	v_or_b32_e32 v1, s6, v1
	s_waitcnt lgkmcnt(0)
	v_cmpx_gt_i32_e64 s7, v1
	s_cbranch_execz .LBB2_40
; %bb.1:
	s_addk_i32 s6, 0x400
	v_cmp_gt_u32_e32 vcc_lo, s6, v1
	s_and_b32 exec_lo, exec_lo, vcc_lo
	s_cbranch_execz .LBB2_40
; %bb.2:
	s_clause 0x6
	s_load_dword s33, s[4:5], 0x28
	s_load_dwordx8 s[8:15], s[4:5], 0x58
	s_load_dwordx8 s[16:23], s[4:5], 0x30
	;; [unrolled: 1-line block ×3, first 2 shown]
	s_load_dword s34, s[4:5], 0x50
	s_load_dwordx2 s[2:3], s[4:5], 0x80
	s_load_dword s4, s[4:5], 0x78
	v_and_b32_e32 v0, 3, v0
	v_mov_b32_e32 v3, 0
	s_mov_b32 s5, 0
	s_waitcnt lgkmcnt(0)
	v_subrev_nc_u32_e32 v0, s33, v0
	s_branch .LBB2_4
.LBB2_3:                                ;   in Loop: Header=BB2_4 Depth=1
	s_or_b32 exec_lo, exec_lo, s35
	v_add_nc_u32_e32 v1, 0x100, v1
	v_cmp_le_u32_e32 vcc_lo, s6, v1
	s_or_b32 s5, vcc_lo, s5
	s_andn2_b32 exec_lo, exec_lo, s5
	s_cbranch_execz .LBB2_40
.LBB2_4:                                ; =>This Loop Header: Depth=1
                                        ;     Child Loop BB2_8 Depth 2
                                        ;       Child Loop BB2_12 Depth 3
                                        ;       Child Loop BB2_26 Depth 3
	;; [unrolled: 1-line block ×3, first 2 shown]
	s_mov_b32 s35, exec_lo
	v_cmpx_gt_i32_e64 s7, v1
	s_cbranch_execz .LBB2_3
; %bb.5:                                ;   in Loop: Header=BB2_4 Depth=1
	v_ashrrev_i32_e32 v2, 31, v1
	v_lshlrev_b64 v[5:6], 2, v[1:2]
	v_add_co_u32 v7, vcc_lo, s24, v5
	v_add_co_ci_u32_e64 v8, null, s25, v6, vcc_lo
	v_add_co_u32 v9, vcc_lo, s26, v5
	v_add_co_ci_u32_e64 v10, null, s27, v6, vcc_lo
	global_load_dword v2, v[7:8], off
	global_load_dword v7, v[9:10], off
	s_waitcnt vmcnt(1)
	v_add_nc_u32_e32 v4, v0, v2
	s_waitcnt vmcnt(0)
	v_subrev_nc_u32_e32 v19, s33, v7
	v_cmp_lt_i32_e32 vcc_lo, v4, v19
	s_and_b32 exec_lo, exec_lo, vcc_lo
	s_cbranch_execz .LBB2_3
; %bb.6:                                ;   in Loop: Header=BB2_4 Depth=1
	v_add_co_u32 v7, vcc_lo, s16, v5
	v_add_co_ci_u32_e64 v8, null, s17, v6, vcc_lo
	v_add_co_u32 v5, vcc_lo, s18, v5
	v_add_co_ci_u32_e64 v6, null, s19, v6, vcc_lo
	global_load_dword v2, v[7:8], off
	s_mov_b32 s36, 0
	global_load_dword v5, v[5:6], off
	s_waitcnt vmcnt(1)
	v_subrev_nc_u32_e32 v6, s34, v2
	s_waitcnt vmcnt(0)
	v_sub_nc_u32_e32 v20, v5, v2
	v_ashrrev_i32_e32 v7, 31, v6
	v_cmp_lt_i32_e64 s0, 0, v20
	v_lshlrev_b64 v[7:8], 2, v[6:7]
	v_add_co_u32 v21, vcc_lo, s20, v7
	v_add_co_ci_u32_e64 v22, null, s21, v8, vcc_lo
	v_add_co_u32 v23, vcc_lo, s22, v7
	v_add_co_ci_u32_e64 v24, null, s23, v8, vcc_lo
	s_branch .LBB2_8
.LBB2_7:                                ;   in Loop: Header=BB2_8 Depth=2
	s_or_b32 exec_lo, exec_lo, s37
	v_add_nc_u32_e32 v4, 4, v4
	v_cmp_ge_i32_e32 vcc_lo, v4, v19
	s_or_b32 s36, vcc_lo, s36
	s_andn2_b32 exec_lo, exec_lo, s36
	s_cbranch_execz .LBB2_3
.LBB2_8:                                ;   Parent Loop BB2_4 Depth=1
                                        ; =>  This Loop Header: Depth=2
                                        ;       Child Loop BB2_12 Depth 3
                                        ;       Child Loop BB2_26 Depth 3
	;; [unrolled: 1-line block ×3, first 2 shown]
	v_ashrrev_i32_e32 v5, 31, v4
	v_mov_b32_e32 v25, 0
	v_lshlrev_b64 v[13:14], 2, v[4:5]
	v_add_co_u32 v7, vcc_lo, s28, v13
	v_add_co_ci_u32_e64 v8, null, s29, v14, vcc_lo
	global_load_dword v2, v[7:8], off
	s_waitcnt vmcnt(0)
	v_subrev_nc_u32_e32 v7, s33, v2
	v_ashrrev_i32_e32 v8, 31, v7
	v_lshlrev_b64 v[11:12], 2, v[7:8]
	v_add_co_u32 v8, vcc_lo, s8, v11
	v_add_co_ci_u32_e64 v9, null, s9, v12, vcc_lo
	v_add_co_u32 v15, vcc_lo, s10, v11
	v_add_co_ci_u32_e64 v16, null, s11, v12, vcc_lo
	global_load_dword v2, v[8:9], off
	global_load_dword v5, v[15:16], off
	v_mov_b32_e32 v9, 0
	s_waitcnt vmcnt(1)
	v_subrev_nc_u32_e32 v8, s4, v2
	s_waitcnt vmcnt(0)
	v_sub_nc_u32_e32 v5, v5, v2
	v_mov_b32_e32 v2, v9
	s_and_saveexec_b32 s37, s0
	s_cbranch_execz .LBB2_16
; %bb.9:                                ;   in Loop: Header=BB2_8 Depth=2
	v_ashrrev_i32_e32 v9, 31, v8
	v_mov_b32_e32 v25, 0
	v_mov_b32_e32 v2, 0
	s_mov_b32 s38, 0
                                        ; implicit-def: $sgpr39
	v_lshlrev_b64 v[9:10], 2, v[8:9]
	v_add_co_u32 v26, vcc_lo, s12, v9
	v_add_co_ci_u32_e64 v27, null, s13, v10, vcc_lo
	v_add_co_u32 v28, vcc_lo, s14, v9
	v_add_co_ci_u32_e64 v29, null, s15, v10, vcc_lo
	v_mov_b32_e32 v9, 0
	s_branch .LBB2_12
.LBB2_10:                               ;   in Loop: Header=BB2_12 Depth=3
	s_or_b32 exec_lo, exec_lo, s1
	v_cmp_le_i32_e32 vcc_lo, v10, v30
	v_cmp_ge_i32_e64 s1, v10, v30
	v_add_co_ci_u32_e64 v2, null, 0, v2, vcc_lo
	v_add_co_ci_u32_e64 v9, null, 0, v9, s1
	s_andn2_b32 s1, s39, exec_lo
	v_cmp_ge_i32_e32 vcc_lo, v2, v20
	s_and_b32 s39, vcc_lo, exec_lo
	s_or_b32 s39, s1, s39
.LBB2_11:                               ;   in Loop: Header=BB2_12 Depth=3
	s_or_b32 exec_lo, exec_lo, s40
	s_and_b32 s1, exec_lo, s39
	s_or_b32 s38, s1, s38
	s_andn2_b32 exec_lo, exec_lo, s38
	s_cbranch_execz .LBB2_15
.LBB2_12:                               ;   Parent Loop BB2_4 Depth=1
                                        ;     Parent Loop BB2_8 Depth=2
                                        ; =>    This Inner Loop Header: Depth=3
	s_or_b32 s39, s39, exec_lo
	s_mov_b32 s40, exec_lo
	v_cmpx_lt_i32_e64 v9, v5
	s_cbranch_execz .LBB2_11
; %bb.13:                               ;   in Loop: Header=BB2_12 Depth=3
	v_mov_b32_e32 v10, v3
	v_lshlrev_b64 v[17:18], 2, v[2:3]
	s_mov_b32 s1, exec_lo
	v_lshlrev_b64 v[15:16], 2, v[9:10]
	v_add_co_u32 v30, vcc_lo, v21, v17
	v_add_co_ci_u32_e64 v31, null, v22, v18, vcc_lo
	v_add_co_u32 v32, vcc_lo, v26, v15
	v_add_co_ci_u32_e64 v33, null, v27, v16, vcc_lo
	global_load_dword v10, v[30:31], off
	global_load_dword v30, v[32:33], off
	s_waitcnt vmcnt(1)
	v_subrev_nc_u32_e32 v10, s34, v10
	s_waitcnt vmcnt(0)
	v_subrev_nc_u32_e32 v30, s4, v30
	v_cmpx_eq_u32_e64 v10, v30
	s_cbranch_execz .LBB2_10
; %bb.14:                               ;   in Loop: Header=BB2_12 Depth=3
	v_add_co_u32 v17, vcc_lo, v23, v17
	v_add_co_ci_u32_e64 v18, null, v24, v18, vcc_lo
	v_add_co_u32 v15, vcc_lo, v28, v15
	v_add_co_ci_u32_e64 v16, null, v29, v16, vcc_lo
	global_load_dword v17, v[17:18], off
	global_load_dword v15, v[15:16], off
	s_waitcnt vmcnt(0)
	v_fmac_f32_e32 v25, v17, v15
	s_branch .LBB2_10
.LBB2_15:                               ;   in Loop: Header=BB2_8 Depth=2
	s_or_b32 exec_lo, exec_lo, s38
.LBB2_16:                               ;   in Loop: Header=BB2_8 Depth=2
	s_or_b32 exec_lo, exec_lo, s37
	v_add_co_u32 v13, vcc_lo, s30, v13
	v_add_co_ci_u32_e64 v14, null, s31, v14, vcc_lo
	v_cmp_le_i32_e64 s1, v1, v7
	s_mov_b32 s37, exec_lo
	global_load_dword v10, v[13:14], off
	s_waitcnt vmcnt(0)
	v_sub_f32_e32 v13, v10, v25
	v_cmpx_gt_i32_e64 v1, v7
	s_cbranch_execz .LBB2_18
; %bb.17:                               ;   in Loop: Header=BB2_8 Depth=2
	v_add_co_u32 v14, vcc_lo, s2, v11
	v_add_co_ci_u32_e64 v15, null, s3, v12, vcc_lo
	global_load_dword v10, v[14:15], off
	s_waitcnt vmcnt(0)
	v_div_scale_f32 v14, null, v10, v10, v13
	v_rcp_f32_e32 v15, v14
	v_fma_f32 v16, -v14, v15, 1.0
	v_fmac_f32_e32 v15, v16, v15
	v_div_scale_f32 v16, vcc_lo, v13, v10, v13
	v_mul_f32_e32 v17, v16, v15
	v_fma_f32 v18, -v14, v17, v16
	v_fmac_f32_e32 v17, v18, v15
	v_fma_f32 v14, -v14, v17, v16
	v_div_fmas_f32 v14, v14, v15, v17
	v_div_fixup_f32 v13, v14, v10, v13
.LBB2_18:                               ;   in Loop: Header=BB2_8 Depth=2
	s_or_b32 exec_lo, exec_lo, s37
	v_cmp_class_f32_e64 s38, v13, 0x1f8
	s_and_saveexec_b32 s37, s38
	s_cbranch_execz .LBB2_7
; %bb.19:                               ;   in Loop: Header=BB2_8 Depth=2
	s_and_saveexec_b32 s38, s1
	s_xor_b32 s1, exec_lo, s38
	s_cbranch_execz .LBB2_32
; %bb.20:                               ;   in Loop: Header=BB2_8 Depth=2
	s_mov_b32 s38, exec_lo
	v_cmpx_ge_i32_e64 v1, v7
	s_xor_b32 s38, exec_lo, s38
	s_cbranch_execz .LBB2_22
; %bb.21:                               ;   in Loop: Header=BB2_8 Depth=2
	v_add_co_u32 v7, vcc_lo, s2, v11
	v_add_co_ci_u32_e64 v8, null, s3, v12, vcc_lo
                                        ; implicit-def: $vgpr9
                                        ; implicit-def: $vgpr5
	global_store_dword v[7:8], v13, off
                                        ; implicit-def: $vgpr13
                                        ; implicit-def: $vgpr8
.LBB2_22:                               ;   in Loop: Header=BB2_8 Depth=2
	s_andn2_saveexec_b32 s38, s38
	s_cbranch_execz .LBB2_31
; %bb.23:                               ;   in Loop: Header=BB2_8 Depth=2
	s_mov_b32 s39, exec_lo
	v_cmpx_lt_i32_e64 v9, v5
	s_cbranch_execz .LBB2_30
; %bb.24:                               ;   in Loop: Header=BB2_8 Depth=2
	s_mov_b32 s40, 0
                                        ; implicit-def: $sgpr41
                                        ; implicit-def: $sgpr43
                                        ; implicit-def: $sgpr42
	s_inst_prefetch 0x1
	s_branch .LBB2_26
	.p2align	6
.LBB2_25:                               ;   in Loop: Header=BB2_26 Depth=3
	s_or_b32 exec_lo, exec_lo, s44
	s_and_b32 s44, exec_lo, s43
	s_or_b32 s40, s44, s40
	s_andn2_b32 s41, s41, exec_lo
	s_and_b32 s44, s42, exec_lo
	s_or_b32 s41, s41, s44
	s_andn2_b32 exec_lo, exec_lo, s40
	s_cbranch_execz .LBB2_28
.LBB2_26:                               ;   Parent Loop BB2_4 Depth=1
                                        ;     Parent Loop BB2_8 Depth=2
                                        ; =>    This Inner Loop Header: Depth=3
	v_add_nc_u32_e32 v10, v8, v9
	s_or_b32 s42, s42, exec_lo
	s_or_b32 s43, s43, exec_lo
	s_mov_b32 s44, exec_lo
	v_ashrrev_i32_e32 v11, 31, v10
	v_lshlrev_b64 v[10:11], 2, v[10:11]
	v_add_co_u32 v14, vcc_lo, s12, v10
	v_add_co_ci_u32_e64 v15, null, s13, v11, vcc_lo
	global_load_dword v2, v[14:15], off
	s_waitcnt vmcnt(0)
	v_subrev_nc_u32_e32 v2, s4, v2
	v_cmpx_ne_u32_e64 v2, v1
	s_cbranch_execz .LBB2_25
; %bb.27:                               ;   in Loop: Header=BB2_26 Depth=3
	v_add_nc_u32_e32 v9, 1, v9
	s_andn2_b32 s43, s43, exec_lo
	s_andn2_b32 s42, s42, exec_lo
	v_cmp_ge_i32_e32 vcc_lo, v9, v5
	s_and_b32 s45, vcc_lo, exec_lo
	s_or_b32 s43, s43, s45
	s_branch .LBB2_25
.LBB2_28:                               ;   in Loop: Header=BB2_8 Depth=2
	s_inst_prefetch 0x2
	s_or_b32 exec_lo, exec_lo, s40
	s_and_saveexec_b32 s40, s41
	s_xor_b32 s40, exec_lo, s40
	s_cbranch_execz .LBB2_30
; %bb.29:                               ;   in Loop: Header=BB2_8 Depth=2
	v_add_co_u32 v7, vcc_lo, s14, v10
	v_add_co_ci_u32_e64 v8, null, s15, v11, vcc_lo
	global_store_dword v[7:8], v13, off
.LBB2_30:                               ;   in Loop: Header=BB2_8 Depth=2
	s_or_b32 exec_lo, exec_lo, s39
.LBB2_31:                               ;   in Loop: Header=BB2_8 Depth=2
	s_or_b32 exec_lo, exec_lo, s38
                                        ; implicit-def: $vgpr13
                                        ; implicit-def: $vgpr7_vgpr8
.LBB2_32:                               ;   in Loop: Header=BB2_8 Depth=2
	s_andn2_saveexec_b32 s1, s1
	s_cbranch_execz .LBB2_7
; %bb.33:                               ;   in Loop: Header=BB2_8 Depth=2
	v_cmp_lt_i32_e32 vcc_lo, v2, v20
	s_and_b32 exec_lo, exec_lo, vcc_lo
	s_cbranch_execz .LBB2_7
; %bb.34:                               ;   in Loop: Header=BB2_8 Depth=2
	s_mov_b32 s1, 0
                                        ; implicit-def: $sgpr38
                                        ; implicit-def: $sgpr40
                                        ; implicit-def: $sgpr39
	s_inst_prefetch 0x1
	s_branch .LBB2_36
	.p2align	6
.LBB2_35:                               ;   in Loop: Header=BB2_36 Depth=3
	s_or_b32 exec_lo, exec_lo, s41
	s_and_b32 s41, exec_lo, s40
	s_or_b32 s1, s41, s1
	s_andn2_b32 s38, s38, exec_lo
	s_and_b32 s41, s39, exec_lo
	s_or_b32 s38, s38, s41
	s_andn2_b32 exec_lo, exec_lo, s1
	s_cbranch_execz .LBB2_38
.LBB2_36:                               ;   Parent Loop BB2_4 Depth=1
                                        ;     Parent Loop BB2_8 Depth=2
                                        ; =>    This Inner Loop Header: Depth=3
	v_add_nc_u32_e32 v8, v6, v2
	s_or_b32 s39, s39, exec_lo
	s_or_b32 s40, s40, exec_lo
	s_mov_b32 s41, exec_lo
	v_ashrrev_i32_e32 v9, 31, v8
	v_lshlrev_b64 v[8:9], 2, v[8:9]
	v_add_co_u32 v10, vcc_lo, s20, v8
	v_add_co_ci_u32_e64 v11, null, s21, v9, vcc_lo
	global_load_dword v5, v[10:11], off
	s_waitcnt vmcnt(0)
	v_subrev_nc_u32_e32 v5, s34, v5
	v_cmpx_ne_u32_e64 v5, v7
	s_cbranch_execz .LBB2_35
; %bb.37:                               ;   in Loop: Header=BB2_36 Depth=3
	v_add_nc_u32_e32 v2, 1, v2
	s_andn2_b32 s40, s40, exec_lo
	s_andn2_b32 s39, s39, exec_lo
	v_cmp_ge_i32_e32 vcc_lo, v2, v20
	s_and_b32 s42, vcc_lo, exec_lo
	s_or_b32 s40, s40, s42
	s_branch .LBB2_35
.LBB2_38:                               ;   in Loop: Header=BB2_8 Depth=2
	s_inst_prefetch 0x2
	s_or_b32 exec_lo, exec_lo, s1
	s_and_saveexec_b32 s1, s38
	s_xor_b32 s1, exec_lo, s1
	s_cbranch_execz .LBB2_7
; %bb.39:                               ;   in Loop: Header=BB2_8 Depth=2
	v_add_co_u32 v7, vcc_lo, s22, v8
	v_add_co_ci_u32_e64 v8, null, s23, v9, vcc_lo
	global_store_dword v[7:8], v13, off
	s_branch .LBB2_7
.LBB2_40:
	s_endpgm
	.section	.rodata,"a",@progbits
	.p2align	6, 0x0
	.amdhsa_kernel _ZN9rocsparseL25kernel_correction_no_normILi1024ELi4EfiiEEvT3_T2_PKS2_S4_PKS1_PKT1_21rocsparse_index_base_S4_S4_S6_PS7_SA_S4_S4_S6_SB_SA_SB_
		.amdhsa_group_segment_fixed_size 0
		.amdhsa_private_segment_fixed_size 0
		.amdhsa_kernarg_size 136
		.amdhsa_user_sgpr_count 6
		.amdhsa_user_sgpr_private_segment_buffer 1
		.amdhsa_user_sgpr_dispatch_ptr 0
		.amdhsa_user_sgpr_queue_ptr 0
		.amdhsa_user_sgpr_kernarg_segment_ptr 1
		.amdhsa_user_sgpr_dispatch_id 0
		.amdhsa_user_sgpr_flat_scratch_init 0
		.amdhsa_user_sgpr_private_segment_size 0
		.amdhsa_wavefront_size32 1
		.amdhsa_uses_dynamic_stack 0
		.amdhsa_system_sgpr_private_segment_wavefront_offset 0
		.amdhsa_system_sgpr_workgroup_id_x 1
		.amdhsa_system_sgpr_workgroup_id_y 0
		.amdhsa_system_sgpr_workgroup_id_z 0
		.amdhsa_system_sgpr_workgroup_info 0
		.amdhsa_system_vgpr_workitem_id 0
		.amdhsa_next_free_vgpr 34
		.amdhsa_next_free_sgpr 46
		.amdhsa_reserve_vcc 1
		.amdhsa_reserve_flat_scratch 0
		.amdhsa_float_round_mode_32 0
		.amdhsa_float_round_mode_16_64 0
		.amdhsa_float_denorm_mode_32 3
		.amdhsa_float_denorm_mode_16_64 3
		.amdhsa_dx10_clamp 1
		.amdhsa_ieee_mode 1
		.amdhsa_fp16_overflow 0
		.amdhsa_workgroup_processor_mode 1
		.amdhsa_memory_ordered 1
		.amdhsa_forward_progress 1
		.amdhsa_shared_vgpr_count 0
		.amdhsa_exception_fp_ieee_invalid_op 0
		.amdhsa_exception_fp_denorm_src 0
		.amdhsa_exception_fp_ieee_div_zero 0
		.amdhsa_exception_fp_ieee_overflow 0
		.amdhsa_exception_fp_ieee_underflow 0
		.amdhsa_exception_fp_ieee_inexact 0
		.amdhsa_exception_int_div_zero 0
	.end_amdhsa_kernel
	.section	.text._ZN9rocsparseL25kernel_correction_no_normILi1024ELi4EfiiEEvT3_T2_PKS2_S4_PKS1_PKT1_21rocsparse_index_base_S4_S4_S6_PS7_SA_S4_S4_S6_SB_SA_SB_,"axG",@progbits,_ZN9rocsparseL25kernel_correction_no_normILi1024ELi4EfiiEEvT3_T2_PKS2_S4_PKS1_PKT1_21rocsparse_index_base_S4_S4_S6_PS7_SA_S4_S4_S6_SB_SA_SB_,comdat
.Lfunc_end2:
	.size	_ZN9rocsparseL25kernel_correction_no_normILi1024ELi4EfiiEEvT3_T2_PKS2_S4_PKS1_PKT1_21rocsparse_index_base_S4_S4_S6_PS7_SA_S4_S4_S6_SB_SA_SB_, .Lfunc_end2-_ZN9rocsparseL25kernel_correction_no_normILi1024ELi4EfiiEEvT3_T2_PKS2_S4_PKS1_PKT1_21rocsparse_index_base_S4_S4_S6_PS7_SA_S4_S4_S6_SB_SA_SB_
                                        ; -- End function
	.set _ZN9rocsparseL25kernel_correction_no_normILi1024ELi4EfiiEEvT3_T2_PKS2_S4_PKS1_PKT1_21rocsparse_index_base_S4_S4_S6_PS7_SA_S4_S4_S6_SB_SA_SB_.num_vgpr, 34
	.set _ZN9rocsparseL25kernel_correction_no_normILi1024ELi4EfiiEEvT3_T2_PKS2_S4_PKS1_PKT1_21rocsparse_index_base_S4_S4_S6_PS7_SA_S4_S4_S6_SB_SA_SB_.num_agpr, 0
	.set _ZN9rocsparseL25kernel_correction_no_normILi1024ELi4EfiiEEvT3_T2_PKS2_S4_PKS1_PKT1_21rocsparse_index_base_S4_S4_S6_PS7_SA_S4_S4_S6_SB_SA_SB_.numbered_sgpr, 46
	.set _ZN9rocsparseL25kernel_correction_no_normILi1024ELi4EfiiEEvT3_T2_PKS2_S4_PKS1_PKT1_21rocsparse_index_base_S4_S4_S6_PS7_SA_S4_S4_S6_SB_SA_SB_.num_named_barrier, 0
	.set _ZN9rocsparseL25kernel_correction_no_normILi1024ELi4EfiiEEvT3_T2_PKS2_S4_PKS1_PKT1_21rocsparse_index_base_S4_S4_S6_PS7_SA_S4_S4_S6_SB_SA_SB_.private_seg_size, 0
	.set _ZN9rocsparseL25kernel_correction_no_normILi1024ELi4EfiiEEvT3_T2_PKS2_S4_PKS1_PKT1_21rocsparse_index_base_S4_S4_S6_PS7_SA_S4_S4_S6_SB_SA_SB_.uses_vcc, 1
	.set _ZN9rocsparseL25kernel_correction_no_normILi1024ELi4EfiiEEvT3_T2_PKS2_S4_PKS1_PKT1_21rocsparse_index_base_S4_S4_S6_PS7_SA_S4_S4_S6_SB_SA_SB_.uses_flat_scratch, 0
	.set _ZN9rocsparseL25kernel_correction_no_normILi1024ELi4EfiiEEvT3_T2_PKS2_S4_PKS1_PKT1_21rocsparse_index_base_S4_S4_S6_PS7_SA_S4_S4_S6_SB_SA_SB_.has_dyn_sized_stack, 0
	.set _ZN9rocsparseL25kernel_correction_no_normILi1024ELi4EfiiEEvT3_T2_PKS2_S4_PKS1_PKT1_21rocsparse_index_base_S4_S4_S6_PS7_SA_S4_S4_S6_SB_SA_SB_.has_recursion, 0
	.set _ZN9rocsparseL25kernel_correction_no_normILi1024ELi4EfiiEEvT3_T2_PKS2_S4_PKS1_PKT1_21rocsparse_index_base_S4_S4_S6_PS7_SA_S4_S4_S6_SB_SA_SB_.has_indirect_call, 0
	.section	.AMDGPU.csdata,"",@progbits
; Kernel info:
; codeLenInByte = 1592
; TotalNumSgprs: 48
; NumVgprs: 34
; ScratchSize: 0
; MemoryBound: 0
; FloatMode: 240
; IeeeMode: 1
; LDSByteSize: 0 bytes/workgroup (compile time only)
; SGPRBlocks: 0
; VGPRBlocks: 4
; NumSGPRsForWavesPerEU: 48
; NumVGPRsForWavesPerEU: 34
; Occupancy: 16
; WaveLimiterHint : 1
; COMPUTE_PGM_RSRC2:SCRATCH_EN: 0
; COMPUTE_PGM_RSRC2:USER_SGPR: 6
; COMPUTE_PGM_RSRC2:TRAP_HANDLER: 0
; COMPUTE_PGM_RSRC2:TGID_X_EN: 1
; COMPUTE_PGM_RSRC2:TGID_Y_EN: 0
; COMPUTE_PGM_RSRC2:TGID_Z_EN: 0
; COMPUTE_PGM_RSRC2:TIDIG_COMP_CNT: 0
	.section	.text._ZN9rocsparseL25kernel_correction_no_normILi1024ELi8EfiiEEvT3_T2_PKS2_S4_PKS1_PKT1_21rocsparse_index_base_S4_S4_S6_PS7_SA_S4_S4_S6_SB_SA_SB_,"axG",@progbits,_ZN9rocsparseL25kernel_correction_no_normILi1024ELi8EfiiEEvT3_T2_PKS2_S4_PKS1_PKT1_21rocsparse_index_base_S4_S4_S6_PS7_SA_S4_S4_S6_SB_SA_SB_,comdat
	.globl	_ZN9rocsparseL25kernel_correction_no_normILi1024ELi8EfiiEEvT3_T2_PKS2_S4_PKS1_PKT1_21rocsparse_index_base_S4_S4_S6_PS7_SA_S4_S4_S6_SB_SA_SB_ ; -- Begin function _ZN9rocsparseL25kernel_correction_no_normILi1024ELi8EfiiEEvT3_T2_PKS2_S4_PKS1_PKT1_21rocsparse_index_base_S4_S4_S6_PS7_SA_S4_S4_S6_SB_SA_SB_
	.p2align	8
	.type	_ZN9rocsparseL25kernel_correction_no_normILi1024ELi8EfiiEEvT3_T2_PKS2_S4_PKS1_PKT1_21rocsparse_index_base_S4_S4_S6_PS7_SA_S4_S4_S6_SB_SA_SB_,@function
_ZN9rocsparseL25kernel_correction_no_normILi1024ELi8EfiiEEvT3_T2_PKS2_S4_PKS1_PKT1_21rocsparse_index_base_S4_S4_S6_PS7_SA_S4_S4_S6_SB_SA_SB_: ; @_ZN9rocsparseL25kernel_correction_no_normILi1024ELi8EfiiEEvT3_T2_PKS2_S4_PKS1_PKT1_21rocsparse_index_base_S4_S4_S6_PS7_SA_S4_S4_S6_SB_SA_SB_
; %bb.0:
	s_load_dword s7, s[4:5], 0x0
	v_lshrrev_b32_e32 v1, 3, v0
	s_lshl_b32 s6, s6, 10
	s_mov_b32 s0, exec_lo
	v_or_b32_e32 v1, s6, v1
	s_waitcnt lgkmcnt(0)
	v_cmpx_gt_i32_e64 s7, v1
	s_cbranch_execz .LBB3_40
; %bb.1:
	s_addk_i32 s6, 0x400
	v_cmp_gt_u32_e32 vcc_lo, s6, v1
	s_and_b32 exec_lo, exec_lo, vcc_lo
	s_cbranch_execz .LBB3_40
; %bb.2:
	s_clause 0x6
	s_load_dword s33, s[4:5], 0x28
	s_load_dwordx8 s[8:15], s[4:5], 0x58
	s_load_dwordx8 s[16:23], s[4:5], 0x30
	;; [unrolled: 1-line block ×3, first 2 shown]
	s_load_dword s34, s[4:5], 0x50
	s_load_dwordx2 s[2:3], s[4:5], 0x80
	s_load_dword s4, s[4:5], 0x78
	v_and_b32_e32 v0, 7, v0
	v_mov_b32_e32 v3, 0
	s_mov_b32 s5, 0
	s_waitcnt lgkmcnt(0)
	v_subrev_nc_u32_e32 v0, s33, v0
	s_branch .LBB3_4
.LBB3_3:                                ;   in Loop: Header=BB3_4 Depth=1
	s_or_b32 exec_lo, exec_lo, s35
	v_add_nc_u32_e32 v1, 0x80, v1
	v_cmp_le_u32_e32 vcc_lo, s6, v1
	s_or_b32 s5, vcc_lo, s5
	s_andn2_b32 exec_lo, exec_lo, s5
	s_cbranch_execz .LBB3_40
.LBB3_4:                                ; =>This Loop Header: Depth=1
                                        ;     Child Loop BB3_8 Depth 2
                                        ;       Child Loop BB3_12 Depth 3
                                        ;       Child Loop BB3_26 Depth 3
	;; [unrolled: 1-line block ×3, first 2 shown]
	s_mov_b32 s35, exec_lo
	v_cmpx_gt_i32_e64 s7, v1
	s_cbranch_execz .LBB3_3
; %bb.5:                                ;   in Loop: Header=BB3_4 Depth=1
	v_ashrrev_i32_e32 v2, 31, v1
	v_lshlrev_b64 v[5:6], 2, v[1:2]
	v_add_co_u32 v7, vcc_lo, s24, v5
	v_add_co_ci_u32_e64 v8, null, s25, v6, vcc_lo
	v_add_co_u32 v9, vcc_lo, s26, v5
	v_add_co_ci_u32_e64 v10, null, s27, v6, vcc_lo
	global_load_dword v2, v[7:8], off
	global_load_dword v7, v[9:10], off
	s_waitcnt vmcnt(1)
	v_add_nc_u32_e32 v4, v0, v2
	s_waitcnt vmcnt(0)
	v_subrev_nc_u32_e32 v19, s33, v7
	v_cmp_lt_i32_e32 vcc_lo, v4, v19
	s_and_b32 exec_lo, exec_lo, vcc_lo
	s_cbranch_execz .LBB3_3
; %bb.6:                                ;   in Loop: Header=BB3_4 Depth=1
	v_add_co_u32 v7, vcc_lo, s16, v5
	v_add_co_ci_u32_e64 v8, null, s17, v6, vcc_lo
	v_add_co_u32 v5, vcc_lo, s18, v5
	v_add_co_ci_u32_e64 v6, null, s19, v6, vcc_lo
	global_load_dword v2, v[7:8], off
	s_mov_b32 s36, 0
	global_load_dword v5, v[5:6], off
	s_waitcnt vmcnt(1)
	v_subrev_nc_u32_e32 v6, s34, v2
	s_waitcnt vmcnt(0)
	v_sub_nc_u32_e32 v20, v5, v2
	v_ashrrev_i32_e32 v7, 31, v6
	v_cmp_lt_i32_e64 s0, 0, v20
	v_lshlrev_b64 v[7:8], 2, v[6:7]
	v_add_co_u32 v21, vcc_lo, s20, v7
	v_add_co_ci_u32_e64 v22, null, s21, v8, vcc_lo
	v_add_co_u32 v23, vcc_lo, s22, v7
	v_add_co_ci_u32_e64 v24, null, s23, v8, vcc_lo
	s_branch .LBB3_8
.LBB3_7:                                ;   in Loop: Header=BB3_8 Depth=2
	s_or_b32 exec_lo, exec_lo, s37
	v_add_nc_u32_e32 v4, 8, v4
	v_cmp_ge_i32_e32 vcc_lo, v4, v19
	s_or_b32 s36, vcc_lo, s36
	s_andn2_b32 exec_lo, exec_lo, s36
	s_cbranch_execz .LBB3_3
.LBB3_8:                                ;   Parent Loop BB3_4 Depth=1
                                        ; =>  This Loop Header: Depth=2
                                        ;       Child Loop BB3_12 Depth 3
                                        ;       Child Loop BB3_26 Depth 3
	;; [unrolled: 1-line block ×3, first 2 shown]
	v_ashrrev_i32_e32 v5, 31, v4
	v_mov_b32_e32 v25, 0
	v_lshlrev_b64 v[13:14], 2, v[4:5]
	v_add_co_u32 v7, vcc_lo, s28, v13
	v_add_co_ci_u32_e64 v8, null, s29, v14, vcc_lo
	global_load_dword v2, v[7:8], off
	s_waitcnt vmcnt(0)
	v_subrev_nc_u32_e32 v7, s33, v2
	v_ashrrev_i32_e32 v8, 31, v7
	v_lshlrev_b64 v[11:12], 2, v[7:8]
	v_add_co_u32 v8, vcc_lo, s8, v11
	v_add_co_ci_u32_e64 v9, null, s9, v12, vcc_lo
	v_add_co_u32 v15, vcc_lo, s10, v11
	v_add_co_ci_u32_e64 v16, null, s11, v12, vcc_lo
	global_load_dword v2, v[8:9], off
	global_load_dword v5, v[15:16], off
	v_mov_b32_e32 v9, 0
	s_waitcnt vmcnt(1)
	v_subrev_nc_u32_e32 v8, s4, v2
	s_waitcnt vmcnt(0)
	v_sub_nc_u32_e32 v5, v5, v2
	v_mov_b32_e32 v2, v9
	s_and_saveexec_b32 s37, s0
	s_cbranch_execz .LBB3_16
; %bb.9:                                ;   in Loop: Header=BB3_8 Depth=2
	v_ashrrev_i32_e32 v9, 31, v8
	v_mov_b32_e32 v25, 0
	v_mov_b32_e32 v2, 0
	s_mov_b32 s38, 0
                                        ; implicit-def: $sgpr39
	v_lshlrev_b64 v[9:10], 2, v[8:9]
	v_add_co_u32 v26, vcc_lo, s12, v9
	v_add_co_ci_u32_e64 v27, null, s13, v10, vcc_lo
	v_add_co_u32 v28, vcc_lo, s14, v9
	v_add_co_ci_u32_e64 v29, null, s15, v10, vcc_lo
	v_mov_b32_e32 v9, 0
	s_branch .LBB3_12
.LBB3_10:                               ;   in Loop: Header=BB3_12 Depth=3
	s_or_b32 exec_lo, exec_lo, s1
	v_cmp_le_i32_e32 vcc_lo, v10, v30
	v_cmp_ge_i32_e64 s1, v10, v30
	v_add_co_ci_u32_e64 v2, null, 0, v2, vcc_lo
	v_add_co_ci_u32_e64 v9, null, 0, v9, s1
	s_andn2_b32 s1, s39, exec_lo
	v_cmp_ge_i32_e32 vcc_lo, v2, v20
	s_and_b32 s39, vcc_lo, exec_lo
	s_or_b32 s39, s1, s39
.LBB3_11:                               ;   in Loop: Header=BB3_12 Depth=3
	s_or_b32 exec_lo, exec_lo, s40
	s_and_b32 s1, exec_lo, s39
	s_or_b32 s38, s1, s38
	s_andn2_b32 exec_lo, exec_lo, s38
	s_cbranch_execz .LBB3_15
.LBB3_12:                               ;   Parent Loop BB3_4 Depth=1
                                        ;     Parent Loop BB3_8 Depth=2
                                        ; =>    This Inner Loop Header: Depth=3
	s_or_b32 s39, s39, exec_lo
	s_mov_b32 s40, exec_lo
	v_cmpx_lt_i32_e64 v9, v5
	s_cbranch_execz .LBB3_11
; %bb.13:                               ;   in Loop: Header=BB3_12 Depth=3
	v_mov_b32_e32 v10, v3
	v_lshlrev_b64 v[17:18], 2, v[2:3]
	s_mov_b32 s1, exec_lo
	v_lshlrev_b64 v[15:16], 2, v[9:10]
	v_add_co_u32 v30, vcc_lo, v21, v17
	v_add_co_ci_u32_e64 v31, null, v22, v18, vcc_lo
	v_add_co_u32 v32, vcc_lo, v26, v15
	v_add_co_ci_u32_e64 v33, null, v27, v16, vcc_lo
	global_load_dword v10, v[30:31], off
	global_load_dword v30, v[32:33], off
	s_waitcnt vmcnt(1)
	v_subrev_nc_u32_e32 v10, s34, v10
	s_waitcnt vmcnt(0)
	v_subrev_nc_u32_e32 v30, s4, v30
	v_cmpx_eq_u32_e64 v10, v30
	s_cbranch_execz .LBB3_10
; %bb.14:                               ;   in Loop: Header=BB3_12 Depth=3
	v_add_co_u32 v17, vcc_lo, v23, v17
	v_add_co_ci_u32_e64 v18, null, v24, v18, vcc_lo
	v_add_co_u32 v15, vcc_lo, v28, v15
	v_add_co_ci_u32_e64 v16, null, v29, v16, vcc_lo
	global_load_dword v17, v[17:18], off
	global_load_dword v15, v[15:16], off
	s_waitcnt vmcnt(0)
	v_fmac_f32_e32 v25, v17, v15
	s_branch .LBB3_10
.LBB3_15:                               ;   in Loop: Header=BB3_8 Depth=2
	s_or_b32 exec_lo, exec_lo, s38
.LBB3_16:                               ;   in Loop: Header=BB3_8 Depth=2
	s_or_b32 exec_lo, exec_lo, s37
	v_add_co_u32 v13, vcc_lo, s30, v13
	v_add_co_ci_u32_e64 v14, null, s31, v14, vcc_lo
	v_cmp_le_i32_e64 s1, v1, v7
	s_mov_b32 s37, exec_lo
	global_load_dword v10, v[13:14], off
	s_waitcnt vmcnt(0)
	v_sub_f32_e32 v13, v10, v25
	v_cmpx_gt_i32_e64 v1, v7
	s_cbranch_execz .LBB3_18
; %bb.17:                               ;   in Loop: Header=BB3_8 Depth=2
	v_add_co_u32 v14, vcc_lo, s2, v11
	v_add_co_ci_u32_e64 v15, null, s3, v12, vcc_lo
	global_load_dword v10, v[14:15], off
	s_waitcnt vmcnt(0)
	v_div_scale_f32 v14, null, v10, v10, v13
	v_rcp_f32_e32 v15, v14
	v_fma_f32 v16, -v14, v15, 1.0
	v_fmac_f32_e32 v15, v16, v15
	v_div_scale_f32 v16, vcc_lo, v13, v10, v13
	v_mul_f32_e32 v17, v16, v15
	v_fma_f32 v18, -v14, v17, v16
	v_fmac_f32_e32 v17, v18, v15
	v_fma_f32 v14, -v14, v17, v16
	v_div_fmas_f32 v14, v14, v15, v17
	v_div_fixup_f32 v13, v14, v10, v13
.LBB3_18:                               ;   in Loop: Header=BB3_8 Depth=2
	s_or_b32 exec_lo, exec_lo, s37
	v_cmp_class_f32_e64 s38, v13, 0x1f8
	s_and_saveexec_b32 s37, s38
	s_cbranch_execz .LBB3_7
; %bb.19:                               ;   in Loop: Header=BB3_8 Depth=2
	s_and_saveexec_b32 s38, s1
	s_xor_b32 s1, exec_lo, s38
	s_cbranch_execz .LBB3_32
; %bb.20:                               ;   in Loop: Header=BB3_8 Depth=2
	s_mov_b32 s38, exec_lo
	v_cmpx_ge_i32_e64 v1, v7
	s_xor_b32 s38, exec_lo, s38
	s_cbranch_execz .LBB3_22
; %bb.21:                               ;   in Loop: Header=BB3_8 Depth=2
	v_add_co_u32 v7, vcc_lo, s2, v11
	v_add_co_ci_u32_e64 v8, null, s3, v12, vcc_lo
                                        ; implicit-def: $vgpr9
                                        ; implicit-def: $vgpr5
	global_store_dword v[7:8], v13, off
                                        ; implicit-def: $vgpr13
                                        ; implicit-def: $vgpr8
.LBB3_22:                               ;   in Loop: Header=BB3_8 Depth=2
	s_andn2_saveexec_b32 s38, s38
	s_cbranch_execz .LBB3_31
; %bb.23:                               ;   in Loop: Header=BB3_8 Depth=2
	s_mov_b32 s39, exec_lo
	v_cmpx_lt_i32_e64 v9, v5
	s_cbranch_execz .LBB3_30
; %bb.24:                               ;   in Loop: Header=BB3_8 Depth=2
	s_mov_b32 s40, 0
                                        ; implicit-def: $sgpr41
                                        ; implicit-def: $sgpr43
                                        ; implicit-def: $sgpr42
	s_inst_prefetch 0x1
	s_branch .LBB3_26
	.p2align	6
.LBB3_25:                               ;   in Loop: Header=BB3_26 Depth=3
	s_or_b32 exec_lo, exec_lo, s44
	s_and_b32 s44, exec_lo, s43
	s_or_b32 s40, s44, s40
	s_andn2_b32 s41, s41, exec_lo
	s_and_b32 s44, s42, exec_lo
	s_or_b32 s41, s41, s44
	s_andn2_b32 exec_lo, exec_lo, s40
	s_cbranch_execz .LBB3_28
.LBB3_26:                               ;   Parent Loop BB3_4 Depth=1
                                        ;     Parent Loop BB3_8 Depth=2
                                        ; =>    This Inner Loop Header: Depth=3
	v_add_nc_u32_e32 v10, v8, v9
	s_or_b32 s42, s42, exec_lo
	s_or_b32 s43, s43, exec_lo
	s_mov_b32 s44, exec_lo
	v_ashrrev_i32_e32 v11, 31, v10
	v_lshlrev_b64 v[10:11], 2, v[10:11]
	v_add_co_u32 v14, vcc_lo, s12, v10
	v_add_co_ci_u32_e64 v15, null, s13, v11, vcc_lo
	global_load_dword v2, v[14:15], off
	s_waitcnt vmcnt(0)
	v_subrev_nc_u32_e32 v2, s4, v2
	v_cmpx_ne_u32_e64 v2, v1
	s_cbranch_execz .LBB3_25
; %bb.27:                               ;   in Loop: Header=BB3_26 Depth=3
	v_add_nc_u32_e32 v9, 1, v9
	s_andn2_b32 s43, s43, exec_lo
	s_andn2_b32 s42, s42, exec_lo
	v_cmp_ge_i32_e32 vcc_lo, v9, v5
	s_and_b32 s45, vcc_lo, exec_lo
	s_or_b32 s43, s43, s45
	s_branch .LBB3_25
.LBB3_28:                               ;   in Loop: Header=BB3_8 Depth=2
	s_inst_prefetch 0x2
	s_or_b32 exec_lo, exec_lo, s40
	s_and_saveexec_b32 s40, s41
	s_xor_b32 s40, exec_lo, s40
	s_cbranch_execz .LBB3_30
; %bb.29:                               ;   in Loop: Header=BB3_8 Depth=2
	v_add_co_u32 v7, vcc_lo, s14, v10
	v_add_co_ci_u32_e64 v8, null, s15, v11, vcc_lo
	global_store_dword v[7:8], v13, off
.LBB3_30:                               ;   in Loop: Header=BB3_8 Depth=2
	s_or_b32 exec_lo, exec_lo, s39
.LBB3_31:                               ;   in Loop: Header=BB3_8 Depth=2
	s_or_b32 exec_lo, exec_lo, s38
                                        ; implicit-def: $vgpr13
                                        ; implicit-def: $vgpr7_vgpr8
.LBB3_32:                               ;   in Loop: Header=BB3_8 Depth=2
	s_andn2_saveexec_b32 s1, s1
	s_cbranch_execz .LBB3_7
; %bb.33:                               ;   in Loop: Header=BB3_8 Depth=2
	v_cmp_lt_i32_e32 vcc_lo, v2, v20
	s_and_b32 exec_lo, exec_lo, vcc_lo
	s_cbranch_execz .LBB3_7
; %bb.34:                               ;   in Loop: Header=BB3_8 Depth=2
	s_mov_b32 s1, 0
                                        ; implicit-def: $sgpr38
                                        ; implicit-def: $sgpr40
                                        ; implicit-def: $sgpr39
	s_inst_prefetch 0x1
	s_branch .LBB3_36
	.p2align	6
.LBB3_35:                               ;   in Loop: Header=BB3_36 Depth=3
	s_or_b32 exec_lo, exec_lo, s41
	s_and_b32 s41, exec_lo, s40
	s_or_b32 s1, s41, s1
	s_andn2_b32 s38, s38, exec_lo
	s_and_b32 s41, s39, exec_lo
	s_or_b32 s38, s38, s41
	s_andn2_b32 exec_lo, exec_lo, s1
	s_cbranch_execz .LBB3_38
.LBB3_36:                               ;   Parent Loop BB3_4 Depth=1
                                        ;     Parent Loop BB3_8 Depth=2
                                        ; =>    This Inner Loop Header: Depth=3
	v_add_nc_u32_e32 v8, v6, v2
	s_or_b32 s39, s39, exec_lo
	s_or_b32 s40, s40, exec_lo
	s_mov_b32 s41, exec_lo
	v_ashrrev_i32_e32 v9, 31, v8
	v_lshlrev_b64 v[8:9], 2, v[8:9]
	v_add_co_u32 v10, vcc_lo, s20, v8
	v_add_co_ci_u32_e64 v11, null, s21, v9, vcc_lo
	global_load_dword v5, v[10:11], off
	s_waitcnt vmcnt(0)
	v_subrev_nc_u32_e32 v5, s34, v5
	v_cmpx_ne_u32_e64 v5, v7
	s_cbranch_execz .LBB3_35
; %bb.37:                               ;   in Loop: Header=BB3_36 Depth=3
	v_add_nc_u32_e32 v2, 1, v2
	s_andn2_b32 s40, s40, exec_lo
	s_andn2_b32 s39, s39, exec_lo
	v_cmp_ge_i32_e32 vcc_lo, v2, v20
	s_and_b32 s42, vcc_lo, exec_lo
	s_or_b32 s40, s40, s42
	s_branch .LBB3_35
.LBB3_38:                               ;   in Loop: Header=BB3_8 Depth=2
	s_inst_prefetch 0x2
	s_or_b32 exec_lo, exec_lo, s1
	s_and_saveexec_b32 s1, s38
	s_xor_b32 s1, exec_lo, s1
	s_cbranch_execz .LBB3_7
; %bb.39:                               ;   in Loop: Header=BB3_8 Depth=2
	v_add_co_u32 v7, vcc_lo, s22, v8
	v_add_co_ci_u32_e64 v8, null, s23, v9, vcc_lo
	global_store_dword v[7:8], v13, off
	s_branch .LBB3_7
.LBB3_40:
	s_endpgm
	.section	.rodata,"a",@progbits
	.p2align	6, 0x0
	.amdhsa_kernel _ZN9rocsparseL25kernel_correction_no_normILi1024ELi8EfiiEEvT3_T2_PKS2_S4_PKS1_PKT1_21rocsparse_index_base_S4_S4_S6_PS7_SA_S4_S4_S6_SB_SA_SB_
		.amdhsa_group_segment_fixed_size 0
		.amdhsa_private_segment_fixed_size 0
		.amdhsa_kernarg_size 136
		.amdhsa_user_sgpr_count 6
		.amdhsa_user_sgpr_private_segment_buffer 1
		.amdhsa_user_sgpr_dispatch_ptr 0
		.amdhsa_user_sgpr_queue_ptr 0
		.amdhsa_user_sgpr_kernarg_segment_ptr 1
		.amdhsa_user_sgpr_dispatch_id 0
		.amdhsa_user_sgpr_flat_scratch_init 0
		.amdhsa_user_sgpr_private_segment_size 0
		.amdhsa_wavefront_size32 1
		.amdhsa_uses_dynamic_stack 0
		.amdhsa_system_sgpr_private_segment_wavefront_offset 0
		.amdhsa_system_sgpr_workgroup_id_x 1
		.amdhsa_system_sgpr_workgroup_id_y 0
		.amdhsa_system_sgpr_workgroup_id_z 0
		.amdhsa_system_sgpr_workgroup_info 0
		.amdhsa_system_vgpr_workitem_id 0
		.amdhsa_next_free_vgpr 34
		.amdhsa_next_free_sgpr 46
		.amdhsa_reserve_vcc 1
		.amdhsa_reserve_flat_scratch 0
		.amdhsa_float_round_mode_32 0
		.amdhsa_float_round_mode_16_64 0
		.amdhsa_float_denorm_mode_32 3
		.amdhsa_float_denorm_mode_16_64 3
		.amdhsa_dx10_clamp 1
		.amdhsa_ieee_mode 1
		.amdhsa_fp16_overflow 0
		.amdhsa_workgroup_processor_mode 1
		.amdhsa_memory_ordered 1
		.amdhsa_forward_progress 1
		.amdhsa_shared_vgpr_count 0
		.amdhsa_exception_fp_ieee_invalid_op 0
		.amdhsa_exception_fp_denorm_src 0
		.amdhsa_exception_fp_ieee_div_zero 0
		.amdhsa_exception_fp_ieee_overflow 0
		.amdhsa_exception_fp_ieee_underflow 0
		.amdhsa_exception_fp_ieee_inexact 0
		.amdhsa_exception_int_div_zero 0
	.end_amdhsa_kernel
	.section	.text._ZN9rocsparseL25kernel_correction_no_normILi1024ELi8EfiiEEvT3_T2_PKS2_S4_PKS1_PKT1_21rocsparse_index_base_S4_S4_S6_PS7_SA_S4_S4_S6_SB_SA_SB_,"axG",@progbits,_ZN9rocsparseL25kernel_correction_no_normILi1024ELi8EfiiEEvT3_T2_PKS2_S4_PKS1_PKT1_21rocsparse_index_base_S4_S4_S6_PS7_SA_S4_S4_S6_SB_SA_SB_,comdat
.Lfunc_end3:
	.size	_ZN9rocsparseL25kernel_correction_no_normILi1024ELi8EfiiEEvT3_T2_PKS2_S4_PKS1_PKT1_21rocsparse_index_base_S4_S4_S6_PS7_SA_S4_S4_S6_SB_SA_SB_, .Lfunc_end3-_ZN9rocsparseL25kernel_correction_no_normILi1024ELi8EfiiEEvT3_T2_PKS2_S4_PKS1_PKT1_21rocsparse_index_base_S4_S4_S6_PS7_SA_S4_S4_S6_SB_SA_SB_
                                        ; -- End function
	.set _ZN9rocsparseL25kernel_correction_no_normILi1024ELi8EfiiEEvT3_T2_PKS2_S4_PKS1_PKT1_21rocsparse_index_base_S4_S4_S6_PS7_SA_S4_S4_S6_SB_SA_SB_.num_vgpr, 34
	.set _ZN9rocsparseL25kernel_correction_no_normILi1024ELi8EfiiEEvT3_T2_PKS2_S4_PKS1_PKT1_21rocsparse_index_base_S4_S4_S6_PS7_SA_S4_S4_S6_SB_SA_SB_.num_agpr, 0
	.set _ZN9rocsparseL25kernel_correction_no_normILi1024ELi8EfiiEEvT3_T2_PKS2_S4_PKS1_PKT1_21rocsparse_index_base_S4_S4_S6_PS7_SA_S4_S4_S6_SB_SA_SB_.numbered_sgpr, 46
	.set _ZN9rocsparseL25kernel_correction_no_normILi1024ELi8EfiiEEvT3_T2_PKS2_S4_PKS1_PKT1_21rocsparse_index_base_S4_S4_S6_PS7_SA_S4_S4_S6_SB_SA_SB_.num_named_barrier, 0
	.set _ZN9rocsparseL25kernel_correction_no_normILi1024ELi8EfiiEEvT3_T2_PKS2_S4_PKS1_PKT1_21rocsparse_index_base_S4_S4_S6_PS7_SA_S4_S4_S6_SB_SA_SB_.private_seg_size, 0
	.set _ZN9rocsparseL25kernel_correction_no_normILi1024ELi8EfiiEEvT3_T2_PKS2_S4_PKS1_PKT1_21rocsparse_index_base_S4_S4_S6_PS7_SA_S4_S4_S6_SB_SA_SB_.uses_vcc, 1
	.set _ZN9rocsparseL25kernel_correction_no_normILi1024ELi8EfiiEEvT3_T2_PKS2_S4_PKS1_PKT1_21rocsparse_index_base_S4_S4_S6_PS7_SA_S4_S4_S6_SB_SA_SB_.uses_flat_scratch, 0
	.set _ZN9rocsparseL25kernel_correction_no_normILi1024ELi8EfiiEEvT3_T2_PKS2_S4_PKS1_PKT1_21rocsparse_index_base_S4_S4_S6_PS7_SA_S4_S4_S6_SB_SA_SB_.has_dyn_sized_stack, 0
	.set _ZN9rocsparseL25kernel_correction_no_normILi1024ELi8EfiiEEvT3_T2_PKS2_S4_PKS1_PKT1_21rocsparse_index_base_S4_S4_S6_PS7_SA_S4_S4_S6_SB_SA_SB_.has_recursion, 0
	.set _ZN9rocsparseL25kernel_correction_no_normILi1024ELi8EfiiEEvT3_T2_PKS2_S4_PKS1_PKT1_21rocsparse_index_base_S4_S4_S6_PS7_SA_S4_S4_S6_SB_SA_SB_.has_indirect_call, 0
	.section	.AMDGPU.csdata,"",@progbits
; Kernel info:
; codeLenInByte = 1592
; TotalNumSgprs: 48
; NumVgprs: 34
; ScratchSize: 0
; MemoryBound: 0
; FloatMode: 240
; IeeeMode: 1
; LDSByteSize: 0 bytes/workgroup (compile time only)
; SGPRBlocks: 0
; VGPRBlocks: 4
; NumSGPRsForWavesPerEU: 48
; NumVGPRsForWavesPerEU: 34
; Occupancy: 16
; WaveLimiterHint : 1
; COMPUTE_PGM_RSRC2:SCRATCH_EN: 0
; COMPUTE_PGM_RSRC2:USER_SGPR: 6
; COMPUTE_PGM_RSRC2:TRAP_HANDLER: 0
; COMPUTE_PGM_RSRC2:TGID_X_EN: 1
; COMPUTE_PGM_RSRC2:TGID_Y_EN: 0
; COMPUTE_PGM_RSRC2:TGID_Z_EN: 0
; COMPUTE_PGM_RSRC2:TIDIG_COMP_CNT: 0
	.section	.text._ZN9rocsparseL25kernel_correction_no_normILi1024ELi16EfiiEEvT3_T2_PKS2_S4_PKS1_PKT1_21rocsparse_index_base_S4_S4_S6_PS7_SA_S4_S4_S6_SB_SA_SB_,"axG",@progbits,_ZN9rocsparseL25kernel_correction_no_normILi1024ELi16EfiiEEvT3_T2_PKS2_S4_PKS1_PKT1_21rocsparse_index_base_S4_S4_S6_PS7_SA_S4_S4_S6_SB_SA_SB_,comdat
	.globl	_ZN9rocsparseL25kernel_correction_no_normILi1024ELi16EfiiEEvT3_T2_PKS2_S4_PKS1_PKT1_21rocsparse_index_base_S4_S4_S6_PS7_SA_S4_S4_S6_SB_SA_SB_ ; -- Begin function _ZN9rocsparseL25kernel_correction_no_normILi1024ELi16EfiiEEvT3_T2_PKS2_S4_PKS1_PKT1_21rocsparse_index_base_S4_S4_S6_PS7_SA_S4_S4_S6_SB_SA_SB_
	.p2align	8
	.type	_ZN9rocsparseL25kernel_correction_no_normILi1024ELi16EfiiEEvT3_T2_PKS2_S4_PKS1_PKT1_21rocsparse_index_base_S4_S4_S6_PS7_SA_S4_S4_S6_SB_SA_SB_,@function
_ZN9rocsparseL25kernel_correction_no_normILi1024ELi16EfiiEEvT3_T2_PKS2_S4_PKS1_PKT1_21rocsparse_index_base_S4_S4_S6_PS7_SA_S4_S4_S6_SB_SA_SB_: ; @_ZN9rocsparseL25kernel_correction_no_normILi1024ELi16EfiiEEvT3_T2_PKS2_S4_PKS1_PKT1_21rocsparse_index_base_S4_S4_S6_PS7_SA_S4_S4_S6_SB_SA_SB_
; %bb.0:
	s_load_dword s7, s[4:5], 0x0
	v_lshrrev_b32_e32 v1, 4, v0
	s_lshl_b32 s6, s6, 10
	s_mov_b32 s0, exec_lo
	v_or_b32_e32 v1, s6, v1
	s_waitcnt lgkmcnt(0)
	v_cmpx_gt_i32_e64 s7, v1
	s_cbranch_execz .LBB4_40
; %bb.1:
	s_addk_i32 s6, 0x400
	v_cmp_gt_u32_e32 vcc_lo, s6, v1
	s_and_b32 exec_lo, exec_lo, vcc_lo
	s_cbranch_execz .LBB4_40
; %bb.2:
	s_clause 0x6
	s_load_dword s33, s[4:5], 0x28
	s_load_dwordx8 s[8:15], s[4:5], 0x58
	s_load_dwordx8 s[16:23], s[4:5], 0x30
	;; [unrolled: 1-line block ×3, first 2 shown]
	s_load_dword s34, s[4:5], 0x50
	s_load_dwordx2 s[2:3], s[4:5], 0x80
	s_load_dword s4, s[4:5], 0x78
	v_and_b32_e32 v0, 15, v0
	v_mov_b32_e32 v3, 0
	s_mov_b32 s5, 0
	s_waitcnt lgkmcnt(0)
	v_subrev_nc_u32_e32 v0, s33, v0
	s_branch .LBB4_4
.LBB4_3:                                ;   in Loop: Header=BB4_4 Depth=1
	s_or_b32 exec_lo, exec_lo, s35
	v_add_nc_u32_e32 v1, 64, v1
	v_cmp_le_u32_e32 vcc_lo, s6, v1
	s_or_b32 s5, vcc_lo, s5
	s_andn2_b32 exec_lo, exec_lo, s5
	s_cbranch_execz .LBB4_40
.LBB4_4:                                ; =>This Loop Header: Depth=1
                                        ;     Child Loop BB4_8 Depth 2
                                        ;       Child Loop BB4_12 Depth 3
                                        ;       Child Loop BB4_26 Depth 3
	;; [unrolled: 1-line block ×3, first 2 shown]
	s_mov_b32 s35, exec_lo
	v_cmpx_gt_i32_e64 s7, v1
	s_cbranch_execz .LBB4_3
; %bb.5:                                ;   in Loop: Header=BB4_4 Depth=1
	v_ashrrev_i32_e32 v2, 31, v1
	v_lshlrev_b64 v[5:6], 2, v[1:2]
	v_add_co_u32 v7, vcc_lo, s24, v5
	v_add_co_ci_u32_e64 v8, null, s25, v6, vcc_lo
	v_add_co_u32 v9, vcc_lo, s26, v5
	v_add_co_ci_u32_e64 v10, null, s27, v6, vcc_lo
	global_load_dword v2, v[7:8], off
	global_load_dword v7, v[9:10], off
	s_waitcnt vmcnt(1)
	v_add_nc_u32_e32 v4, v0, v2
	s_waitcnt vmcnt(0)
	v_subrev_nc_u32_e32 v19, s33, v7
	v_cmp_lt_i32_e32 vcc_lo, v4, v19
	s_and_b32 exec_lo, exec_lo, vcc_lo
	s_cbranch_execz .LBB4_3
; %bb.6:                                ;   in Loop: Header=BB4_4 Depth=1
	v_add_co_u32 v7, vcc_lo, s16, v5
	v_add_co_ci_u32_e64 v8, null, s17, v6, vcc_lo
	v_add_co_u32 v5, vcc_lo, s18, v5
	v_add_co_ci_u32_e64 v6, null, s19, v6, vcc_lo
	global_load_dword v2, v[7:8], off
	s_mov_b32 s36, 0
	global_load_dword v5, v[5:6], off
	s_waitcnt vmcnt(1)
	v_subrev_nc_u32_e32 v6, s34, v2
	s_waitcnt vmcnt(0)
	v_sub_nc_u32_e32 v20, v5, v2
	v_ashrrev_i32_e32 v7, 31, v6
	v_cmp_lt_i32_e64 s0, 0, v20
	v_lshlrev_b64 v[7:8], 2, v[6:7]
	v_add_co_u32 v21, vcc_lo, s20, v7
	v_add_co_ci_u32_e64 v22, null, s21, v8, vcc_lo
	v_add_co_u32 v23, vcc_lo, s22, v7
	v_add_co_ci_u32_e64 v24, null, s23, v8, vcc_lo
	s_branch .LBB4_8
.LBB4_7:                                ;   in Loop: Header=BB4_8 Depth=2
	s_or_b32 exec_lo, exec_lo, s37
	v_add_nc_u32_e32 v4, 16, v4
	v_cmp_ge_i32_e32 vcc_lo, v4, v19
	s_or_b32 s36, vcc_lo, s36
	s_andn2_b32 exec_lo, exec_lo, s36
	s_cbranch_execz .LBB4_3
.LBB4_8:                                ;   Parent Loop BB4_4 Depth=1
                                        ; =>  This Loop Header: Depth=2
                                        ;       Child Loop BB4_12 Depth 3
                                        ;       Child Loop BB4_26 Depth 3
	;; [unrolled: 1-line block ×3, first 2 shown]
	v_ashrrev_i32_e32 v5, 31, v4
	v_mov_b32_e32 v25, 0
	v_lshlrev_b64 v[13:14], 2, v[4:5]
	v_add_co_u32 v7, vcc_lo, s28, v13
	v_add_co_ci_u32_e64 v8, null, s29, v14, vcc_lo
	global_load_dword v2, v[7:8], off
	s_waitcnt vmcnt(0)
	v_subrev_nc_u32_e32 v7, s33, v2
	v_ashrrev_i32_e32 v8, 31, v7
	v_lshlrev_b64 v[11:12], 2, v[7:8]
	v_add_co_u32 v8, vcc_lo, s8, v11
	v_add_co_ci_u32_e64 v9, null, s9, v12, vcc_lo
	v_add_co_u32 v15, vcc_lo, s10, v11
	v_add_co_ci_u32_e64 v16, null, s11, v12, vcc_lo
	global_load_dword v2, v[8:9], off
	global_load_dword v5, v[15:16], off
	v_mov_b32_e32 v9, 0
	s_waitcnt vmcnt(1)
	v_subrev_nc_u32_e32 v8, s4, v2
	s_waitcnt vmcnt(0)
	v_sub_nc_u32_e32 v5, v5, v2
	v_mov_b32_e32 v2, v9
	s_and_saveexec_b32 s37, s0
	s_cbranch_execz .LBB4_16
; %bb.9:                                ;   in Loop: Header=BB4_8 Depth=2
	v_ashrrev_i32_e32 v9, 31, v8
	v_mov_b32_e32 v25, 0
	v_mov_b32_e32 v2, 0
	s_mov_b32 s38, 0
                                        ; implicit-def: $sgpr39
	v_lshlrev_b64 v[9:10], 2, v[8:9]
	v_add_co_u32 v26, vcc_lo, s12, v9
	v_add_co_ci_u32_e64 v27, null, s13, v10, vcc_lo
	v_add_co_u32 v28, vcc_lo, s14, v9
	v_add_co_ci_u32_e64 v29, null, s15, v10, vcc_lo
	v_mov_b32_e32 v9, 0
	s_branch .LBB4_12
.LBB4_10:                               ;   in Loop: Header=BB4_12 Depth=3
	s_or_b32 exec_lo, exec_lo, s1
	v_cmp_le_i32_e32 vcc_lo, v10, v30
	v_cmp_ge_i32_e64 s1, v10, v30
	v_add_co_ci_u32_e64 v2, null, 0, v2, vcc_lo
	v_add_co_ci_u32_e64 v9, null, 0, v9, s1
	s_andn2_b32 s1, s39, exec_lo
	v_cmp_ge_i32_e32 vcc_lo, v2, v20
	s_and_b32 s39, vcc_lo, exec_lo
	s_or_b32 s39, s1, s39
.LBB4_11:                               ;   in Loop: Header=BB4_12 Depth=3
	s_or_b32 exec_lo, exec_lo, s40
	s_and_b32 s1, exec_lo, s39
	s_or_b32 s38, s1, s38
	s_andn2_b32 exec_lo, exec_lo, s38
	s_cbranch_execz .LBB4_15
.LBB4_12:                               ;   Parent Loop BB4_4 Depth=1
                                        ;     Parent Loop BB4_8 Depth=2
                                        ; =>    This Inner Loop Header: Depth=3
	s_or_b32 s39, s39, exec_lo
	s_mov_b32 s40, exec_lo
	v_cmpx_lt_i32_e64 v9, v5
	s_cbranch_execz .LBB4_11
; %bb.13:                               ;   in Loop: Header=BB4_12 Depth=3
	v_mov_b32_e32 v10, v3
	v_lshlrev_b64 v[17:18], 2, v[2:3]
	s_mov_b32 s1, exec_lo
	v_lshlrev_b64 v[15:16], 2, v[9:10]
	v_add_co_u32 v30, vcc_lo, v21, v17
	v_add_co_ci_u32_e64 v31, null, v22, v18, vcc_lo
	v_add_co_u32 v32, vcc_lo, v26, v15
	v_add_co_ci_u32_e64 v33, null, v27, v16, vcc_lo
	global_load_dword v10, v[30:31], off
	global_load_dword v30, v[32:33], off
	s_waitcnt vmcnt(1)
	v_subrev_nc_u32_e32 v10, s34, v10
	s_waitcnt vmcnt(0)
	v_subrev_nc_u32_e32 v30, s4, v30
	v_cmpx_eq_u32_e64 v10, v30
	s_cbranch_execz .LBB4_10
; %bb.14:                               ;   in Loop: Header=BB4_12 Depth=3
	v_add_co_u32 v17, vcc_lo, v23, v17
	v_add_co_ci_u32_e64 v18, null, v24, v18, vcc_lo
	v_add_co_u32 v15, vcc_lo, v28, v15
	v_add_co_ci_u32_e64 v16, null, v29, v16, vcc_lo
	global_load_dword v17, v[17:18], off
	global_load_dword v15, v[15:16], off
	s_waitcnt vmcnt(0)
	v_fmac_f32_e32 v25, v17, v15
	s_branch .LBB4_10
.LBB4_15:                               ;   in Loop: Header=BB4_8 Depth=2
	s_or_b32 exec_lo, exec_lo, s38
.LBB4_16:                               ;   in Loop: Header=BB4_8 Depth=2
	s_or_b32 exec_lo, exec_lo, s37
	v_add_co_u32 v13, vcc_lo, s30, v13
	v_add_co_ci_u32_e64 v14, null, s31, v14, vcc_lo
	v_cmp_le_i32_e64 s1, v1, v7
	s_mov_b32 s37, exec_lo
	global_load_dword v10, v[13:14], off
	s_waitcnt vmcnt(0)
	v_sub_f32_e32 v13, v10, v25
	v_cmpx_gt_i32_e64 v1, v7
	s_cbranch_execz .LBB4_18
; %bb.17:                               ;   in Loop: Header=BB4_8 Depth=2
	v_add_co_u32 v14, vcc_lo, s2, v11
	v_add_co_ci_u32_e64 v15, null, s3, v12, vcc_lo
	global_load_dword v10, v[14:15], off
	s_waitcnt vmcnt(0)
	v_div_scale_f32 v14, null, v10, v10, v13
	v_rcp_f32_e32 v15, v14
	v_fma_f32 v16, -v14, v15, 1.0
	v_fmac_f32_e32 v15, v16, v15
	v_div_scale_f32 v16, vcc_lo, v13, v10, v13
	v_mul_f32_e32 v17, v16, v15
	v_fma_f32 v18, -v14, v17, v16
	v_fmac_f32_e32 v17, v18, v15
	v_fma_f32 v14, -v14, v17, v16
	v_div_fmas_f32 v14, v14, v15, v17
	v_div_fixup_f32 v13, v14, v10, v13
.LBB4_18:                               ;   in Loop: Header=BB4_8 Depth=2
	s_or_b32 exec_lo, exec_lo, s37
	v_cmp_class_f32_e64 s38, v13, 0x1f8
	s_and_saveexec_b32 s37, s38
	s_cbranch_execz .LBB4_7
; %bb.19:                               ;   in Loop: Header=BB4_8 Depth=2
	s_and_saveexec_b32 s38, s1
	s_xor_b32 s1, exec_lo, s38
	s_cbranch_execz .LBB4_32
; %bb.20:                               ;   in Loop: Header=BB4_8 Depth=2
	s_mov_b32 s38, exec_lo
	v_cmpx_ge_i32_e64 v1, v7
	s_xor_b32 s38, exec_lo, s38
	s_cbranch_execz .LBB4_22
; %bb.21:                               ;   in Loop: Header=BB4_8 Depth=2
	v_add_co_u32 v7, vcc_lo, s2, v11
	v_add_co_ci_u32_e64 v8, null, s3, v12, vcc_lo
                                        ; implicit-def: $vgpr9
                                        ; implicit-def: $vgpr5
	global_store_dword v[7:8], v13, off
                                        ; implicit-def: $vgpr13
                                        ; implicit-def: $vgpr8
.LBB4_22:                               ;   in Loop: Header=BB4_8 Depth=2
	s_andn2_saveexec_b32 s38, s38
	s_cbranch_execz .LBB4_31
; %bb.23:                               ;   in Loop: Header=BB4_8 Depth=2
	s_mov_b32 s39, exec_lo
	v_cmpx_lt_i32_e64 v9, v5
	s_cbranch_execz .LBB4_30
; %bb.24:                               ;   in Loop: Header=BB4_8 Depth=2
	s_mov_b32 s40, 0
                                        ; implicit-def: $sgpr41
                                        ; implicit-def: $sgpr43
                                        ; implicit-def: $sgpr42
	s_inst_prefetch 0x1
	s_branch .LBB4_26
	.p2align	6
.LBB4_25:                               ;   in Loop: Header=BB4_26 Depth=3
	s_or_b32 exec_lo, exec_lo, s44
	s_and_b32 s44, exec_lo, s43
	s_or_b32 s40, s44, s40
	s_andn2_b32 s41, s41, exec_lo
	s_and_b32 s44, s42, exec_lo
	s_or_b32 s41, s41, s44
	s_andn2_b32 exec_lo, exec_lo, s40
	s_cbranch_execz .LBB4_28
.LBB4_26:                               ;   Parent Loop BB4_4 Depth=1
                                        ;     Parent Loop BB4_8 Depth=2
                                        ; =>    This Inner Loop Header: Depth=3
	v_add_nc_u32_e32 v10, v8, v9
	s_or_b32 s42, s42, exec_lo
	s_or_b32 s43, s43, exec_lo
	s_mov_b32 s44, exec_lo
	v_ashrrev_i32_e32 v11, 31, v10
	v_lshlrev_b64 v[10:11], 2, v[10:11]
	v_add_co_u32 v14, vcc_lo, s12, v10
	v_add_co_ci_u32_e64 v15, null, s13, v11, vcc_lo
	global_load_dword v2, v[14:15], off
	s_waitcnt vmcnt(0)
	v_subrev_nc_u32_e32 v2, s4, v2
	v_cmpx_ne_u32_e64 v2, v1
	s_cbranch_execz .LBB4_25
; %bb.27:                               ;   in Loop: Header=BB4_26 Depth=3
	v_add_nc_u32_e32 v9, 1, v9
	s_andn2_b32 s43, s43, exec_lo
	s_andn2_b32 s42, s42, exec_lo
	v_cmp_ge_i32_e32 vcc_lo, v9, v5
	s_and_b32 s45, vcc_lo, exec_lo
	s_or_b32 s43, s43, s45
	s_branch .LBB4_25
.LBB4_28:                               ;   in Loop: Header=BB4_8 Depth=2
	s_inst_prefetch 0x2
	s_or_b32 exec_lo, exec_lo, s40
	s_and_saveexec_b32 s40, s41
	s_xor_b32 s40, exec_lo, s40
	s_cbranch_execz .LBB4_30
; %bb.29:                               ;   in Loop: Header=BB4_8 Depth=2
	v_add_co_u32 v7, vcc_lo, s14, v10
	v_add_co_ci_u32_e64 v8, null, s15, v11, vcc_lo
	global_store_dword v[7:8], v13, off
.LBB4_30:                               ;   in Loop: Header=BB4_8 Depth=2
	s_or_b32 exec_lo, exec_lo, s39
.LBB4_31:                               ;   in Loop: Header=BB4_8 Depth=2
	s_or_b32 exec_lo, exec_lo, s38
                                        ; implicit-def: $vgpr13
                                        ; implicit-def: $vgpr7_vgpr8
.LBB4_32:                               ;   in Loop: Header=BB4_8 Depth=2
	s_andn2_saveexec_b32 s1, s1
	s_cbranch_execz .LBB4_7
; %bb.33:                               ;   in Loop: Header=BB4_8 Depth=2
	v_cmp_lt_i32_e32 vcc_lo, v2, v20
	s_and_b32 exec_lo, exec_lo, vcc_lo
	s_cbranch_execz .LBB4_7
; %bb.34:                               ;   in Loop: Header=BB4_8 Depth=2
	s_mov_b32 s1, 0
                                        ; implicit-def: $sgpr38
                                        ; implicit-def: $sgpr40
                                        ; implicit-def: $sgpr39
	s_inst_prefetch 0x1
	s_branch .LBB4_36
	.p2align	6
.LBB4_35:                               ;   in Loop: Header=BB4_36 Depth=3
	s_or_b32 exec_lo, exec_lo, s41
	s_and_b32 s41, exec_lo, s40
	s_or_b32 s1, s41, s1
	s_andn2_b32 s38, s38, exec_lo
	s_and_b32 s41, s39, exec_lo
	s_or_b32 s38, s38, s41
	s_andn2_b32 exec_lo, exec_lo, s1
	s_cbranch_execz .LBB4_38
.LBB4_36:                               ;   Parent Loop BB4_4 Depth=1
                                        ;     Parent Loop BB4_8 Depth=2
                                        ; =>    This Inner Loop Header: Depth=3
	v_add_nc_u32_e32 v8, v6, v2
	s_or_b32 s39, s39, exec_lo
	s_or_b32 s40, s40, exec_lo
	s_mov_b32 s41, exec_lo
	v_ashrrev_i32_e32 v9, 31, v8
	v_lshlrev_b64 v[8:9], 2, v[8:9]
	v_add_co_u32 v10, vcc_lo, s20, v8
	v_add_co_ci_u32_e64 v11, null, s21, v9, vcc_lo
	global_load_dword v5, v[10:11], off
	s_waitcnt vmcnt(0)
	v_subrev_nc_u32_e32 v5, s34, v5
	v_cmpx_ne_u32_e64 v5, v7
	s_cbranch_execz .LBB4_35
; %bb.37:                               ;   in Loop: Header=BB4_36 Depth=3
	v_add_nc_u32_e32 v2, 1, v2
	s_andn2_b32 s40, s40, exec_lo
	s_andn2_b32 s39, s39, exec_lo
	v_cmp_ge_i32_e32 vcc_lo, v2, v20
	s_and_b32 s42, vcc_lo, exec_lo
	s_or_b32 s40, s40, s42
	s_branch .LBB4_35
.LBB4_38:                               ;   in Loop: Header=BB4_8 Depth=2
	s_inst_prefetch 0x2
	s_or_b32 exec_lo, exec_lo, s1
	s_and_saveexec_b32 s1, s38
	s_xor_b32 s1, exec_lo, s1
	s_cbranch_execz .LBB4_7
; %bb.39:                               ;   in Loop: Header=BB4_8 Depth=2
	v_add_co_u32 v7, vcc_lo, s22, v8
	v_add_co_ci_u32_e64 v8, null, s23, v9, vcc_lo
	global_store_dword v[7:8], v13, off
	s_branch .LBB4_7
.LBB4_40:
	s_endpgm
	.section	.rodata,"a",@progbits
	.p2align	6, 0x0
	.amdhsa_kernel _ZN9rocsparseL25kernel_correction_no_normILi1024ELi16EfiiEEvT3_T2_PKS2_S4_PKS1_PKT1_21rocsparse_index_base_S4_S4_S6_PS7_SA_S4_S4_S6_SB_SA_SB_
		.amdhsa_group_segment_fixed_size 0
		.amdhsa_private_segment_fixed_size 0
		.amdhsa_kernarg_size 136
		.amdhsa_user_sgpr_count 6
		.amdhsa_user_sgpr_private_segment_buffer 1
		.amdhsa_user_sgpr_dispatch_ptr 0
		.amdhsa_user_sgpr_queue_ptr 0
		.amdhsa_user_sgpr_kernarg_segment_ptr 1
		.amdhsa_user_sgpr_dispatch_id 0
		.amdhsa_user_sgpr_flat_scratch_init 0
		.amdhsa_user_sgpr_private_segment_size 0
		.amdhsa_wavefront_size32 1
		.amdhsa_uses_dynamic_stack 0
		.amdhsa_system_sgpr_private_segment_wavefront_offset 0
		.amdhsa_system_sgpr_workgroup_id_x 1
		.amdhsa_system_sgpr_workgroup_id_y 0
		.amdhsa_system_sgpr_workgroup_id_z 0
		.amdhsa_system_sgpr_workgroup_info 0
		.amdhsa_system_vgpr_workitem_id 0
		.amdhsa_next_free_vgpr 34
		.amdhsa_next_free_sgpr 46
		.amdhsa_reserve_vcc 1
		.amdhsa_reserve_flat_scratch 0
		.amdhsa_float_round_mode_32 0
		.amdhsa_float_round_mode_16_64 0
		.amdhsa_float_denorm_mode_32 3
		.amdhsa_float_denorm_mode_16_64 3
		.amdhsa_dx10_clamp 1
		.amdhsa_ieee_mode 1
		.amdhsa_fp16_overflow 0
		.amdhsa_workgroup_processor_mode 1
		.amdhsa_memory_ordered 1
		.amdhsa_forward_progress 1
		.amdhsa_shared_vgpr_count 0
		.amdhsa_exception_fp_ieee_invalid_op 0
		.amdhsa_exception_fp_denorm_src 0
		.amdhsa_exception_fp_ieee_div_zero 0
		.amdhsa_exception_fp_ieee_overflow 0
		.amdhsa_exception_fp_ieee_underflow 0
		.amdhsa_exception_fp_ieee_inexact 0
		.amdhsa_exception_int_div_zero 0
	.end_amdhsa_kernel
	.section	.text._ZN9rocsparseL25kernel_correction_no_normILi1024ELi16EfiiEEvT3_T2_PKS2_S4_PKS1_PKT1_21rocsparse_index_base_S4_S4_S6_PS7_SA_S4_S4_S6_SB_SA_SB_,"axG",@progbits,_ZN9rocsparseL25kernel_correction_no_normILi1024ELi16EfiiEEvT3_T2_PKS2_S4_PKS1_PKT1_21rocsparse_index_base_S4_S4_S6_PS7_SA_S4_S4_S6_SB_SA_SB_,comdat
.Lfunc_end4:
	.size	_ZN9rocsparseL25kernel_correction_no_normILi1024ELi16EfiiEEvT3_T2_PKS2_S4_PKS1_PKT1_21rocsparse_index_base_S4_S4_S6_PS7_SA_S4_S4_S6_SB_SA_SB_, .Lfunc_end4-_ZN9rocsparseL25kernel_correction_no_normILi1024ELi16EfiiEEvT3_T2_PKS2_S4_PKS1_PKT1_21rocsparse_index_base_S4_S4_S6_PS7_SA_S4_S4_S6_SB_SA_SB_
                                        ; -- End function
	.set _ZN9rocsparseL25kernel_correction_no_normILi1024ELi16EfiiEEvT3_T2_PKS2_S4_PKS1_PKT1_21rocsparse_index_base_S4_S4_S6_PS7_SA_S4_S4_S6_SB_SA_SB_.num_vgpr, 34
	.set _ZN9rocsparseL25kernel_correction_no_normILi1024ELi16EfiiEEvT3_T2_PKS2_S4_PKS1_PKT1_21rocsparse_index_base_S4_S4_S6_PS7_SA_S4_S4_S6_SB_SA_SB_.num_agpr, 0
	.set _ZN9rocsparseL25kernel_correction_no_normILi1024ELi16EfiiEEvT3_T2_PKS2_S4_PKS1_PKT1_21rocsparse_index_base_S4_S4_S6_PS7_SA_S4_S4_S6_SB_SA_SB_.numbered_sgpr, 46
	.set _ZN9rocsparseL25kernel_correction_no_normILi1024ELi16EfiiEEvT3_T2_PKS2_S4_PKS1_PKT1_21rocsparse_index_base_S4_S4_S6_PS7_SA_S4_S4_S6_SB_SA_SB_.num_named_barrier, 0
	.set _ZN9rocsparseL25kernel_correction_no_normILi1024ELi16EfiiEEvT3_T2_PKS2_S4_PKS1_PKT1_21rocsparse_index_base_S4_S4_S6_PS7_SA_S4_S4_S6_SB_SA_SB_.private_seg_size, 0
	.set _ZN9rocsparseL25kernel_correction_no_normILi1024ELi16EfiiEEvT3_T2_PKS2_S4_PKS1_PKT1_21rocsparse_index_base_S4_S4_S6_PS7_SA_S4_S4_S6_SB_SA_SB_.uses_vcc, 1
	.set _ZN9rocsparseL25kernel_correction_no_normILi1024ELi16EfiiEEvT3_T2_PKS2_S4_PKS1_PKT1_21rocsparse_index_base_S4_S4_S6_PS7_SA_S4_S4_S6_SB_SA_SB_.uses_flat_scratch, 0
	.set _ZN9rocsparseL25kernel_correction_no_normILi1024ELi16EfiiEEvT3_T2_PKS2_S4_PKS1_PKT1_21rocsparse_index_base_S4_S4_S6_PS7_SA_S4_S4_S6_SB_SA_SB_.has_dyn_sized_stack, 0
	.set _ZN9rocsparseL25kernel_correction_no_normILi1024ELi16EfiiEEvT3_T2_PKS2_S4_PKS1_PKT1_21rocsparse_index_base_S4_S4_S6_PS7_SA_S4_S4_S6_SB_SA_SB_.has_recursion, 0
	.set _ZN9rocsparseL25kernel_correction_no_normILi1024ELi16EfiiEEvT3_T2_PKS2_S4_PKS1_PKT1_21rocsparse_index_base_S4_S4_S6_PS7_SA_S4_S4_S6_SB_SA_SB_.has_indirect_call, 0
	.section	.AMDGPU.csdata,"",@progbits
; Kernel info:
; codeLenInByte = 1592
; TotalNumSgprs: 48
; NumVgprs: 34
; ScratchSize: 0
; MemoryBound: 0
; FloatMode: 240
; IeeeMode: 1
; LDSByteSize: 0 bytes/workgroup (compile time only)
; SGPRBlocks: 0
; VGPRBlocks: 4
; NumSGPRsForWavesPerEU: 48
; NumVGPRsForWavesPerEU: 34
; Occupancy: 16
; WaveLimiterHint : 1
; COMPUTE_PGM_RSRC2:SCRATCH_EN: 0
; COMPUTE_PGM_RSRC2:USER_SGPR: 6
; COMPUTE_PGM_RSRC2:TRAP_HANDLER: 0
; COMPUTE_PGM_RSRC2:TGID_X_EN: 1
; COMPUTE_PGM_RSRC2:TGID_Y_EN: 0
; COMPUTE_PGM_RSRC2:TGID_Z_EN: 0
; COMPUTE_PGM_RSRC2:TIDIG_COMP_CNT: 0
	.section	.text._ZN9rocsparseL25kernel_correction_no_normILi1024ELi32EfiiEEvT3_T2_PKS2_S4_PKS1_PKT1_21rocsparse_index_base_S4_S4_S6_PS7_SA_S4_S4_S6_SB_SA_SB_,"axG",@progbits,_ZN9rocsparseL25kernel_correction_no_normILi1024ELi32EfiiEEvT3_T2_PKS2_S4_PKS1_PKT1_21rocsparse_index_base_S4_S4_S6_PS7_SA_S4_S4_S6_SB_SA_SB_,comdat
	.globl	_ZN9rocsparseL25kernel_correction_no_normILi1024ELi32EfiiEEvT3_T2_PKS2_S4_PKS1_PKT1_21rocsparse_index_base_S4_S4_S6_PS7_SA_S4_S4_S6_SB_SA_SB_ ; -- Begin function _ZN9rocsparseL25kernel_correction_no_normILi1024ELi32EfiiEEvT3_T2_PKS2_S4_PKS1_PKT1_21rocsparse_index_base_S4_S4_S6_PS7_SA_S4_S4_S6_SB_SA_SB_
	.p2align	8
	.type	_ZN9rocsparseL25kernel_correction_no_normILi1024ELi32EfiiEEvT3_T2_PKS2_S4_PKS1_PKT1_21rocsparse_index_base_S4_S4_S6_PS7_SA_S4_S4_S6_SB_SA_SB_,@function
_ZN9rocsparseL25kernel_correction_no_normILi1024ELi32EfiiEEvT3_T2_PKS2_S4_PKS1_PKT1_21rocsparse_index_base_S4_S4_S6_PS7_SA_S4_S4_S6_SB_SA_SB_: ; @_ZN9rocsparseL25kernel_correction_no_normILi1024ELi32EfiiEEvT3_T2_PKS2_S4_PKS1_PKT1_21rocsparse_index_base_S4_S4_S6_PS7_SA_S4_S4_S6_SB_SA_SB_
; %bb.0:
	s_load_dword s7, s[4:5], 0x0
	v_lshrrev_b32_e32 v1, 5, v0
	s_lshl_b32 s6, s6, 10
	s_mov_b32 s0, exec_lo
	v_or_b32_e32 v1, s6, v1
	s_waitcnt lgkmcnt(0)
	v_cmpx_gt_i32_e64 s7, v1
	s_cbranch_execz .LBB5_40
; %bb.1:
	s_addk_i32 s6, 0x400
	v_cmp_gt_u32_e32 vcc_lo, s6, v1
	s_and_b32 exec_lo, exec_lo, vcc_lo
	s_cbranch_execz .LBB5_40
; %bb.2:
	s_clause 0x6
	s_load_dword s33, s[4:5], 0x28
	s_load_dwordx8 s[8:15], s[4:5], 0x58
	s_load_dwordx8 s[16:23], s[4:5], 0x30
	;; [unrolled: 1-line block ×3, first 2 shown]
	s_load_dword s34, s[4:5], 0x50
	s_load_dwordx2 s[2:3], s[4:5], 0x80
	s_load_dword s4, s[4:5], 0x78
	v_and_b32_e32 v0, 31, v0
	v_mov_b32_e32 v3, 0
	s_mov_b32 s5, 0
	s_waitcnt lgkmcnt(0)
	v_subrev_nc_u32_e32 v0, s33, v0
	s_branch .LBB5_4
.LBB5_3:                                ;   in Loop: Header=BB5_4 Depth=1
	s_or_b32 exec_lo, exec_lo, s35
	v_add_nc_u32_e32 v1, 32, v1
	v_cmp_le_u32_e32 vcc_lo, s6, v1
	s_or_b32 s5, vcc_lo, s5
	s_andn2_b32 exec_lo, exec_lo, s5
	s_cbranch_execz .LBB5_40
.LBB5_4:                                ; =>This Loop Header: Depth=1
                                        ;     Child Loop BB5_8 Depth 2
                                        ;       Child Loop BB5_12 Depth 3
                                        ;       Child Loop BB5_26 Depth 3
	;; [unrolled: 1-line block ×3, first 2 shown]
	s_mov_b32 s35, exec_lo
	v_cmpx_gt_i32_e64 s7, v1
	s_cbranch_execz .LBB5_3
; %bb.5:                                ;   in Loop: Header=BB5_4 Depth=1
	v_ashrrev_i32_e32 v2, 31, v1
	v_lshlrev_b64 v[5:6], 2, v[1:2]
	v_add_co_u32 v7, vcc_lo, s24, v5
	v_add_co_ci_u32_e64 v8, null, s25, v6, vcc_lo
	v_add_co_u32 v9, vcc_lo, s26, v5
	v_add_co_ci_u32_e64 v10, null, s27, v6, vcc_lo
	global_load_dword v2, v[7:8], off
	global_load_dword v7, v[9:10], off
	s_waitcnt vmcnt(1)
	v_add_nc_u32_e32 v4, v0, v2
	s_waitcnt vmcnt(0)
	v_subrev_nc_u32_e32 v19, s33, v7
	v_cmp_lt_i32_e32 vcc_lo, v4, v19
	s_and_b32 exec_lo, exec_lo, vcc_lo
	s_cbranch_execz .LBB5_3
; %bb.6:                                ;   in Loop: Header=BB5_4 Depth=1
	v_add_co_u32 v7, vcc_lo, s16, v5
	v_add_co_ci_u32_e64 v8, null, s17, v6, vcc_lo
	v_add_co_u32 v5, vcc_lo, s18, v5
	v_add_co_ci_u32_e64 v6, null, s19, v6, vcc_lo
	global_load_dword v2, v[7:8], off
	s_mov_b32 s36, 0
	global_load_dword v5, v[5:6], off
	s_waitcnt vmcnt(1)
	v_subrev_nc_u32_e32 v6, s34, v2
	s_waitcnt vmcnt(0)
	v_sub_nc_u32_e32 v20, v5, v2
	v_ashrrev_i32_e32 v7, 31, v6
	v_cmp_lt_i32_e64 s0, 0, v20
	v_lshlrev_b64 v[7:8], 2, v[6:7]
	v_add_co_u32 v21, vcc_lo, s20, v7
	v_add_co_ci_u32_e64 v22, null, s21, v8, vcc_lo
	v_add_co_u32 v23, vcc_lo, s22, v7
	v_add_co_ci_u32_e64 v24, null, s23, v8, vcc_lo
	s_branch .LBB5_8
.LBB5_7:                                ;   in Loop: Header=BB5_8 Depth=2
	s_or_b32 exec_lo, exec_lo, s37
	v_add_nc_u32_e32 v4, 32, v4
	v_cmp_ge_i32_e32 vcc_lo, v4, v19
	s_or_b32 s36, vcc_lo, s36
	s_andn2_b32 exec_lo, exec_lo, s36
	s_cbranch_execz .LBB5_3
.LBB5_8:                                ;   Parent Loop BB5_4 Depth=1
                                        ; =>  This Loop Header: Depth=2
                                        ;       Child Loop BB5_12 Depth 3
                                        ;       Child Loop BB5_26 Depth 3
	;; [unrolled: 1-line block ×3, first 2 shown]
	v_ashrrev_i32_e32 v5, 31, v4
	v_mov_b32_e32 v25, 0
	v_lshlrev_b64 v[13:14], 2, v[4:5]
	v_add_co_u32 v7, vcc_lo, s28, v13
	v_add_co_ci_u32_e64 v8, null, s29, v14, vcc_lo
	global_load_dword v2, v[7:8], off
	s_waitcnt vmcnt(0)
	v_subrev_nc_u32_e32 v7, s33, v2
	v_ashrrev_i32_e32 v8, 31, v7
	v_lshlrev_b64 v[11:12], 2, v[7:8]
	v_add_co_u32 v8, vcc_lo, s8, v11
	v_add_co_ci_u32_e64 v9, null, s9, v12, vcc_lo
	v_add_co_u32 v15, vcc_lo, s10, v11
	v_add_co_ci_u32_e64 v16, null, s11, v12, vcc_lo
	global_load_dword v2, v[8:9], off
	global_load_dword v5, v[15:16], off
	v_mov_b32_e32 v9, 0
	s_waitcnt vmcnt(1)
	v_subrev_nc_u32_e32 v8, s4, v2
	s_waitcnt vmcnt(0)
	v_sub_nc_u32_e32 v5, v5, v2
	v_mov_b32_e32 v2, v9
	s_and_saveexec_b32 s37, s0
	s_cbranch_execz .LBB5_16
; %bb.9:                                ;   in Loop: Header=BB5_8 Depth=2
	v_ashrrev_i32_e32 v9, 31, v8
	v_mov_b32_e32 v25, 0
	v_mov_b32_e32 v2, 0
	s_mov_b32 s38, 0
                                        ; implicit-def: $sgpr39
	v_lshlrev_b64 v[9:10], 2, v[8:9]
	v_add_co_u32 v26, vcc_lo, s12, v9
	v_add_co_ci_u32_e64 v27, null, s13, v10, vcc_lo
	v_add_co_u32 v28, vcc_lo, s14, v9
	v_add_co_ci_u32_e64 v29, null, s15, v10, vcc_lo
	v_mov_b32_e32 v9, 0
	s_branch .LBB5_12
.LBB5_10:                               ;   in Loop: Header=BB5_12 Depth=3
	s_or_b32 exec_lo, exec_lo, s1
	v_cmp_le_i32_e32 vcc_lo, v10, v30
	v_cmp_ge_i32_e64 s1, v10, v30
	v_add_co_ci_u32_e64 v2, null, 0, v2, vcc_lo
	v_add_co_ci_u32_e64 v9, null, 0, v9, s1
	s_andn2_b32 s1, s39, exec_lo
	v_cmp_ge_i32_e32 vcc_lo, v2, v20
	s_and_b32 s39, vcc_lo, exec_lo
	s_or_b32 s39, s1, s39
.LBB5_11:                               ;   in Loop: Header=BB5_12 Depth=3
	s_or_b32 exec_lo, exec_lo, s40
	s_and_b32 s1, exec_lo, s39
	s_or_b32 s38, s1, s38
	s_andn2_b32 exec_lo, exec_lo, s38
	s_cbranch_execz .LBB5_15
.LBB5_12:                               ;   Parent Loop BB5_4 Depth=1
                                        ;     Parent Loop BB5_8 Depth=2
                                        ; =>    This Inner Loop Header: Depth=3
	s_or_b32 s39, s39, exec_lo
	s_mov_b32 s40, exec_lo
	v_cmpx_lt_i32_e64 v9, v5
	s_cbranch_execz .LBB5_11
; %bb.13:                               ;   in Loop: Header=BB5_12 Depth=3
	v_mov_b32_e32 v10, v3
	v_lshlrev_b64 v[17:18], 2, v[2:3]
	s_mov_b32 s1, exec_lo
	v_lshlrev_b64 v[15:16], 2, v[9:10]
	v_add_co_u32 v30, vcc_lo, v21, v17
	v_add_co_ci_u32_e64 v31, null, v22, v18, vcc_lo
	v_add_co_u32 v32, vcc_lo, v26, v15
	v_add_co_ci_u32_e64 v33, null, v27, v16, vcc_lo
	global_load_dword v10, v[30:31], off
	global_load_dword v30, v[32:33], off
	s_waitcnt vmcnt(1)
	v_subrev_nc_u32_e32 v10, s34, v10
	s_waitcnt vmcnt(0)
	v_subrev_nc_u32_e32 v30, s4, v30
	v_cmpx_eq_u32_e64 v10, v30
	s_cbranch_execz .LBB5_10
; %bb.14:                               ;   in Loop: Header=BB5_12 Depth=3
	v_add_co_u32 v17, vcc_lo, v23, v17
	v_add_co_ci_u32_e64 v18, null, v24, v18, vcc_lo
	v_add_co_u32 v15, vcc_lo, v28, v15
	v_add_co_ci_u32_e64 v16, null, v29, v16, vcc_lo
	global_load_dword v17, v[17:18], off
	global_load_dword v15, v[15:16], off
	s_waitcnt vmcnt(0)
	v_fmac_f32_e32 v25, v17, v15
	s_branch .LBB5_10
.LBB5_15:                               ;   in Loop: Header=BB5_8 Depth=2
	s_or_b32 exec_lo, exec_lo, s38
.LBB5_16:                               ;   in Loop: Header=BB5_8 Depth=2
	s_or_b32 exec_lo, exec_lo, s37
	v_add_co_u32 v13, vcc_lo, s30, v13
	v_add_co_ci_u32_e64 v14, null, s31, v14, vcc_lo
	v_cmp_le_i32_e64 s1, v1, v7
	s_mov_b32 s37, exec_lo
	global_load_dword v10, v[13:14], off
	s_waitcnt vmcnt(0)
	v_sub_f32_e32 v13, v10, v25
	v_cmpx_gt_i32_e64 v1, v7
	s_cbranch_execz .LBB5_18
; %bb.17:                               ;   in Loop: Header=BB5_8 Depth=2
	v_add_co_u32 v14, vcc_lo, s2, v11
	v_add_co_ci_u32_e64 v15, null, s3, v12, vcc_lo
	global_load_dword v10, v[14:15], off
	s_waitcnt vmcnt(0)
	v_div_scale_f32 v14, null, v10, v10, v13
	v_rcp_f32_e32 v15, v14
	v_fma_f32 v16, -v14, v15, 1.0
	v_fmac_f32_e32 v15, v16, v15
	v_div_scale_f32 v16, vcc_lo, v13, v10, v13
	v_mul_f32_e32 v17, v16, v15
	v_fma_f32 v18, -v14, v17, v16
	v_fmac_f32_e32 v17, v18, v15
	v_fma_f32 v14, -v14, v17, v16
	v_div_fmas_f32 v14, v14, v15, v17
	v_div_fixup_f32 v13, v14, v10, v13
.LBB5_18:                               ;   in Loop: Header=BB5_8 Depth=2
	s_or_b32 exec_lo, exec_lo, s37
	v_cmp_class_f32_e64 s38, v13, 0x1f8
	s_and_saveexec_b32 s37, s38
	s_cbranch_execz .LBB5_7
; %bb.19:                               ;   in Loop: Header=BB5_8 Depth=2
	s_and_saveexec_b32 s38, s1
	s_xor_b32 s1, exec_lo, s38
	s_cbranch_execz .LBB5_32
; %bb.20:                               ;   in Loop: Header=BB5_8 Depth=2
	s_mov_b32 s38, exec_lo
	v_cmpx_ge_i32_e64 v1, v7
	s_xor_b32 s38, exec_lo, s38
	s_cbranch_execz .LBB5_22
; %bb.21:                               ;   in Loop: Header=BB5_8 Depth=2
	v_add_co_u32 v7, vcc_lo, s2, v11
	v_add_co_ci_u32_e64 v8, null, s3, v12, vcc_lo
                                        ; implicit-def: $vgpr9
                                        ; implicit-def: $vgpr5
	global_store_dword v[7:8], v13, off
                                        ; implicit-def: $vgpr13
                                        ; implicit-def: $vgpr8
.LBB5_22:                               ;   in Loop: Header=BB5_8 Depth=2
	s_andn2_saveexec_b32 s38, s38
	s_cbranch_execz .LBB5_31
; %bb.23:                               ;   in Loop: Header=BB5_8 Depth=2
	s_mov_b32 s39, exec_lo
	v_cmpx_lt_i32_e64 v9, v5
	s_cbranch_execz .LBB5_30
; %bb.24:                               ;   in Loop: Header=BB5_8 Depth=2
	s_mov_b32 s40, 0
                                        ; implicit-def: $sgpr41
                                        ; implicit-def: $sgpr43
                                        ; implicit-def: $sgpr42
	s_inst_prefetch 0x1
	s_branch .LBB5_26
	.p2align	6
.LBB5_25:                               ;   in Loop: Header=BB5_26 Depth=3
	s_or_b32 exec_lo, exec_lo, s44
	s_and_b32 s44, exec_lo, s43
	s_or_b32 s40, s44, s40
	s_andn2_b32 s41, s41, exec_lo
	s_and_b32 s44, s42, exec_lo
	s_or_b32 s41, s41, s44
	s_andn2_b32 exec_lo, exec_lo, s40
	s_cbranch_execz .LBB5_28
.LBB5_26:                               ;   Parent Loop BB5_4 Depth=1
                                        ;     Parent Loop BB5_8 Depth=2
                                        ; =>    This Inner Loop Header: Depth=3
	v_add_nc_u32_e32 v10, v8, v9
	s_or_b32 s42, s42, exec_lo
	s_or_b32 s43, s43, exec_lo
	s_mov_b32 s44, exec_lo
	v_ashrrev_i32_e32 v11, 31, v10
	v_lshlrev_b64 v[10:11], 2, v[10:11]
	v_add_co_u32 v14, vcc_lo, s12, v10
	v_add_co_ci_u32_e64 v15, null, s13, v11, vcc_lo
	global_load_dword v2, v[14:15], off
	s_waitcnt vmcnt(0)
	v_subrev_nc_u32_e32 v2, s4, v2
	v_cmpx_ne_u32_e64 v2, v1
	s_cbranch_execz .LBB5_25
; %bb.27:                               ;   in Loop: Header=BB5_26 Depth=3
	v_add_nc_u32_e32 v9, 1, v9
	s_andn2_b32 s43, s43, exec_lo
	s_andn2_b32 s42, s42, exec_lo
	v_cmp_ge_i32_e32 vcc_lo, v9, v5
	s_and_b32 s45, vcc_lo, exec_lo
	s_or_b32 s43, s43, s45
	s_branch .LBB5_25
.LBB5_28:                               ;   in Loop: Header=BB5_8 Depth=2
	s_inst_prefetch 0x2
	s_or_b32 exec_lo, exec_lo, s40
	s_and_saveexec_b32 s40, s41
	s_xor_b32 s40, exec_lo, s40
	s_cbranch_execz .LBB5_30
; %bb.29:                               ;   in Loop: Header=BB5_8 Depth=2
	v_add_co_u32 v7, vcc_lo, s14, v10
	v_add_co_ci_u32_e64 v8, null, s15, v11, vcc_lo
	global_store_dword v[7:8], v13, off
.LBB5_30:                               ;   in Loop: Header=BB5_8 Depth=2
	s_or_b32 exec_lo, exec_lo, s39
.LBB5_31:                               ;   in Loop: Header=BB5_8 Depth=2
	s_or_b32 exec_lo, exec_lo, s38
                                        ; implicit-def: $vgpr13
                                        ; implicit-def: $vgpr7_vgpr8
.LBB5_32:                               ;   in Loop: Header=BB5_8 Depth=2
	s_andn2_saveexec_b32 s1, s1
	s_cbranch_execz .LBB5_7
; %bb.33:                               ;   in Loop: Header=BB5_8 Depth=2
	v_cmp_lt_i32_e32 vcc_lo, v2, v20
	s_and_b32 exec_lo, exec_lo, vcc_lo
	s_cbranch_execz .LBB5_7
; %bb.34:                               ;   in Loop: Header=BB5_8 Depth=2
	s_mov_b32 s1, 0
                                        ; implicit-def: $sgpr38
                                        ; implicit-def: $sgpr40
                                        ; implicit-def: $sgpr39
	s_inst_prefetch 0x1
	s_branch .LBB5_36
	.p2align	6
.LBB5_35:                               ;   in Loop: Header=BB5_36 Depth=3
	s_or_b32 exec_lo, exec_lo, s41
	s_and_b32 s41, exec_lo, s40
	s_or_b32 s1, s41, s1
	s_andn2_b32 s38, s38, exec_lo
	s_and_b32 s41, s39, exec_lo
	s_or_b32 s38, s38, s41
	s_andn2_b32 exec_lo, exec_lo, s1
	s_cbranch_execz .LBB5_38
.LBB5_36:                               ;   Parent Loop BB5_4 Depth=1
                                        ;     Parent Loop BB5_8 Depth=2
                                        ; =>    This Inner Loop Header: Depth=3
	v_add_nc_u32_e32 v8, v6, v2
	s_or_b32 s39, s39, exec_lo
	s_or_b32 s40, s40, exec_lo
	s_mov_b32 s41, exec_lo
	v_ashrrev_i32_e32 v9, 31, v8
	v_lshlrev_b64 v[8:9], 2, v[8:9]
	v_add_co_u32 v10, vcc_lo, s20, v8
	v_add_co_ci_u32_e64 v11, null, s21, v9, vcc_lo
	global_load_dword v5, v[10:11], off
	s_waitcnt vmcnt(0)
	v_subrev_nc_u32_e32 v5, s34, v5
	v_cmpx_ne_u32_e64 v5, v7
	s_cbranch_execz .LBB5_35
; %bb.37:                               ;   in Loop: Header=BB5_36 Depth=3
	v_add_nc_u32_e32 v2, 1, v2
	s_andn2_b32 s40, s40, exec_lo
	s_andn2_b32 s39, s39, exec_lo
	v_cmp_ge_i32_e32 vcc_lo, v2, v20
	s_and_b32 s42, vcc_lo, exec_lo
	s_or_b32 s40, s40, s42
	s_branch .LBB5_35
.LBB5_38:                               ;   in Loop: Header=BB5_8 Depth=2
	s_inst_prefetch 0x2
	s_or_b32 exec_lo, exec_lo, s1
	s_and_saveexec_b32 s1, s38
	s_xor_b32 s1, exec_lo, s1
	s_cbranch_execz .LBB5_7
; %bb.39:                               ;   in Loop: Header=BB5_8 Depth=2
	v_add_co_u32 v7, vcc_lo, s22, v8
	v_add_co_ci_u32_e64 v8, null, s23, v9, vcc_lo
	global_store_dword v[7:8], v13, off
	s_branch .LBB5_7
.LBB5_40:
	s_endpgm
	.section	.rodata,"a",@progbits
	.p2align	6, 0x0
	.amdhsa_kernel _ZN9rocsparseL25kernel_correction_no_normILi1024ELi32EfiiEEvT3_T2_PKS2_S4_PKS1_PKT1_21rocsparse_index_base_S4_S4_S6_PS7_SA_S4_S4_S6_SB_SA_SB_
		.amdhsa_group_segment_fixed_size 0
		.amdhsa_private_segment_fixed_size 0
		.amdhsa_kernarg_size 136
		.amdhsa_user_sgpr_count 6
		.amdhsa_user_sgpr_private_segment_buffer 1
		.amdhsa_user_sgpr_dispatch_ptr 0
		.amdhsa_user_sgpr_queue_ptr 0
		.amdhsa_user_sgpr_kernarg_segment_ptr 1
		.amdhsa_user_sgpr_dispatch_id 0
		.amdhsa_user_sgpr_flat_scratch_init 0
		.amdhsa_user_sgpr_private_segment_size 0
		.amdhsa_wavefront_size32 1
		.amdhsa_uses_dynamic_stack 0
		.amdhsa_system_sgpr_private_segment_wavefront_offset 0
		.amdhsa_system_sgpr_workgroup_id_x 1
		.amdhsa_system_sgpr_workgroup_id_y 0
		.amdhsa_system_sgpr_workgroup_id_z 0
		.amdhsa_system_sgpr_workgroup_info 0
		.amdhsa_system_vgpr_workitem_id 0
		.amdhsa_next_free_vgpr 34
		.amdhsa_next_free_sgpr 46
		.amdhsa_reserve_vcc 1
		.amdhsa_reserve_flat_scratch 0
		.amdhsa_float_round_mode_32 0
		.amdhsa_float_round_mode_16_64 0
		.amdhsa_float_denorm_mode_32 3
		.amdhsa_float_denorm_mode_16_64 3
		.amdhsa_dx10_clamp 1
		.amdhsa_ieee_mode 1
		.amdhsa_fp16_overflow 0
		.amdhsa_workgroup_processor_mode 1
		.amdhsa_memory_ordered 1
		.amdhsa_forward_progress 1
		.amdhsa_shared_vgpr_count 0
		.amdhsa_exception_fp_ieee_invalid_op 0
		.amdhsa_exception_fp_denorm_src 0
		.amdhsa_exception_fp_ieee_div_zero 0
		.amdhsa_exception_fp_ieee_overflow 0
		.amdhsa_exception_fp_ieee_underflow 0
		.amdhsa_exception_fp_ieee_inexact 0
		.amdhsa_exception_int_div_zero 0
	.end_amdhsa_kernel
	.section	.text._ZN9rocsparseL25kernel_correction_no_normILi1024ELi32EfiiEEvT3_T2_PKS2_S4_PKS1_PKT1_21rocsparse_index_base_S4_S4_S6_PS7_SA_S4_S4_S6_SB_SA_SB_,"axG",@progbits,_ZN9rocsparseL25kernel_correction_no_normILi1024ELi32EfiiEEvT3_T2_PKS2_S4_PKS1_PKT1_21rocsparse_index_base_S4_S4_S6_PS7_SA_S4_S4_S6_SB_SA_SB_,comdat
.Lfunc_end5:
	.size	_ZN9rocsparseL25kernel_correction_no_normILi1024ELi32EfiiEEvT3_T2_PKS2_S4_PKS1_PKT1_21rocsparse_index_base_S4_S4_S6_PS7_SA_S4_S4_S6_SB_SA_SB_, .Lfunc_end5-_ZN9rocsparseL25kernel_correction_no_normILi1024ELi32EfiiEEvT3_T2_PKS2_S4_PKS1_PKT1_21rocsparse_index_base_S4_S4_S6_PS7_SA_S4_S4_S6_SB_SA_SB_
                                        ; -- End function
	.set _ZN9rocsparseL25kernel_correction_no_normILi1024ELi32EfiiEEvT3_T2_PKS2_S4_PKS1_PKT1_21rocsparse_index_base_S4_S4_S6_PS7_SA_S4_S4_S6_SB_SA_SB_.num_vgpr, 34
	.set _ZN9rocsparseL25kernel_correction_no_normILi1024ELi32EfiiEEvT3_T2_PKS2_S4_PKS1_PKT1_21rocsparse_index_base_S4_S4_S6_PS7_SA_S4_S4_S6_SB_SA_SB_.num_agpr, 0
	.set _ZN9rocsparseL25kernel_correction_no_normILi1024ELi32EfiiEEvT3_T2_PKS2_S4_PKS1_PKT1_21rocsparse_index_base_S4_S4_S6_PS7_SA_S4_S4_S6_SB_SA_SB_.numbered_sgpr, 46
	.set _ZN9rocsparseL25kernel_correction_no_normILi1024ELi32EfiiEEvT3_T2_PKS2_S4_PKS1_PKT1_21rocsparse_index_base_S4_S4_S6_PS7_SA_S4_S4_S6_SB_SA_SB_.num_named_barrier, 0
	.set _ZN9rocsparseL25kernel_correction_no_normILi1024ELi32EfiiEEvT3_T2_PKS2_S4_PKS1_PKT1_21rocsparse_index_base_S4_S4_S6_PS7_SA_S4_S4_S6_SB_SA_SB_.private_seg_size, 0
	.set _ZN9rocsparseL25kernel_correction_no_normILi1024ELi32EfiiEEvT3_T2_PKS2_S4_PKS1_PKT1_21rocsparse_index_base_S4_S4_S6_PS7_SA_S4_S4_S6_SB_SA_SB_.uses_vcc, 1
	.set _ZN9rocsparseL25kernel_correction_no_normILi1024ELi32EfiiEEvT3_T2_PKS2_S4_PKS1_PKT1_21rocsparse_index_base_S4_S4_S6_PS7_SA_S4_S4_S6_SB_SA_SB_.uses_flat_scratch, 0
	.set _ZN9rocsparseL25kernel_correction_no_normILi1024ELi32EfiiEEvT3_T2_PKS2_S4_PKS1_PKT1_21rocsparse_index_base_S4_S4_S6_PS7_SA_S4_S4_S6_SB_SA_SB_.has_dyn_sized_stack, 0
	.set _ZN9rocsparseL25kernel_correction_no_normILi1024ELi32EfiiEEvT3_T2_PKS2_S4_PKS1_PKT1_21rocsparse_index_base_S4_S4_S6_PS7_SA_S4_S4_S6_SB_SA_SB_.has_recursion, 0
	.set _ZN9rocsparseL25kernel_correction_no_normILi1024ELi32EfiiEEvT3_T2_PKS2_S4_PKS1_PKT1_21rocsparse_index_base_S4_S4_S6_PS7_SA_S4_S4_S6_SB_SA_SB_.has_indirect_call, 0
	.section	.AMDGPU.csdata,"",@progbits
; Kernel info:
; codeLenInByte = 1592
; TotalNumSgprs: 48
; NumVgprs: 34
; ScratchSize: 0
; MemoryBound: 0
; FloatMode: 240
; IeeeMode: 1
; LDSByteSize: 0 bytes/workgroup (compile time only)
; SGPRBlocks: 0
; VGPRBlocks: 4
; NumSGPRsForWavesPerEU: 48
; NumVGPRsForWavesPerEU: 34
; Occupancy: 16
; WaveLimiterHint : 1
; COMPUTE_PGM_RSRC2:SCRATCH_EN: 0
; COMPUTE_PGM_RSRC2:USER_SGPR: 6
; COMPUTE_PGM_RSRC2:TRAP_HANDLER: 0
; COMPUTE_PGM_RSRC2:TGID_X_EN: 1
; COMPUTE_PGM_RSRC2:TGID_Y_EN: 0
; COMPUTE_PGM_RSRC2:TGID_Z_EN: 0
; COMPUTE_PGM_RSRC2:TIDIG_COMP_CNT: 0
	.section	.text._ZN9rocsparseL25kernel_correction_no_normILi1024ELi64EfiiEEvT3_T2_PKS2_S4_PKS1_PKT1_21rocsparse_index_base_S4_S4_S6_PS7_SA_S4_S4_S6_SB_SA_SB_,"axG",@progbits,_ZN9rocsparseL25kernel_correction_no_normILi1024ELi64EfiiEEvT3_T2_PKS2_S4_PKS1_PKT1_21rocsparse_index_base_S4_S4_S6_PS7_SA_S4_S4_S6_SB_SA_SB_,comdat
	.globl	_ZN9rocsparseL25kernel_correction_no_normILi1024ELi64EfiiEEvT3_T2_PKS2_S4_PKS1_PKT1_21rocsparse_index_base_S4_S4_S6_PS7_SA_S4_S4_S6_SB_SA_SB_ ; -- Begin function _ZN9rocsparseL25kernel_correction_no_normILi1024ELi64EfiiEEvT3_T2_PKS2_S4_PKS1_PKT1_21rocsparse_index_base_S4_S4_S6_PS7_SA_S4_S4_S6_SB_SA_SB_
	.p2align	8
	.type	_ZN9rocsparseL25kernel_correction_no_normILi1024ELi64EfiiEEvT3_T2_PKS2_S4_PKS1_PKT1_21rocsparse_index_base_S4_S4_S6_PS7_SA_S4_S4_S6_SB_SA_SB_,@function
_ZN9rocsparseL25kernel_correction_no_normILi1024ELi64EfiiEEvT3_T2_PKS2_S4_PKS1_PKT1_21rocsparse_index_base_S4_S4_S6_PS7_SA_S4_S4_S6_SB_SA_SB_: ; @_ZN9rocsparseL25kernel_correction_no_normILi1024ELi64EfiiEEvT3_T2_PKS2_S4_PKS1_PKT1_21rocsparse_index_base_S4_S4_S6_PS7_SA_S4_S4_S6_SB_SA_SB_
; %bb.0:
	s_load_dword s7, s[4:5], 0x0
	v_lshrrev_b32_e32 v1, 6, v0
	s_lshl_b32 s6, s6, 10
	s_mov_b32 s0, exec_lo
	v_or_b32_e32 v1, s6, v1
	s_waitcnt lgkmcnt(0)
	v_cmpx_gt_i32_e64 s7, v1
	s_cbranch_execz .LBB6_40
; %bb.1:
	s_addk_i32 s6, 0x400
	v_cmp_gt_u32_e32 vcc_lo, s6, v1
	s_and_b32 exec_lo, exec_lo, vcc_lo
	s_cbranch_execz .LBB6_40
; %bb.2:
	s_clause 0x6
	s_load_dword s33, s[4:5], 0x28
	s_load_dwordx8 s[8:15], s[4:5], 0x58
	s_load_dwordx8 s[16:23], s[4:5], 0x30
	;; [unrolled: 1-line block ×3, first 2 shown]
	s_load_dword s34, s[4:5], 0x50
	s_load_dwordx2 s[2:3], s[4:5], 0x80
	s_load_dword s4, s[4:5], 0x78
	v_and_b32_e32 v0, 63, v0
	v_mov_b32_e32 v3, 0
	s_mov_b32 s5, 0
	s_waitcnt lgkmcnt(0)
	v_subrev_nc_u32_e32 v0, s33, v0
	s_branch .LBB6_4
.LBB6_3:                                ;   in Loop: Header=BB6_4 Depth=1
	s_or_b32 exec_lo, exec_lo, s35
	v_add_nc_u32_e32 v1, 16, v1
	v_cmp_le_u32_e32 vcc_lo, s6, v1
	s_or_b32 s5, vcc_lo, s5
	s_andn2_b32 exec_lo, exec_lo, s5
	s_cbranch_execz .LBB6_40
.LBB6_4:                                ; =>This Loop Header: Depth=1
                                        ;     Child Loop BB6_8 Depth 2
                                        ;       Child Loop BB6_12 Depth 3
                                        ;       Child Loop BB6_26 Depth 3
	;; [unrolled: 1-line block ×3, first 2 shown]
	s_mov_b32 s35, exec_lo
	v_cmpx_gt_i32_e64 s7, v1
	s_cbranch_execz .LBB6_3
; %bb.5:                                ;   in Loop: Header=BB6_4 Depth=1
	v_ashrrev_i32_e32 v2, 31, v1
	v_lshlrev_b64 v[5:6], 2, v[1:2]
	v_add_co_u32 v7, vcc_lo, s24, v5
	v_add_co_ci_u32_e64 v8, null, s25, v6, vcc_lo
	v_add_co_u32 v9, vcc_lo, s26, v5
	v_add_co_ci_u32_e64 v10, null, s27, v6, vcc_lo
	global_load_dword v2, v[7:8], off
	global_load_dword v7, v[9:10], off
	s_waitcnt vmcnt(1)
	v_add_nc_u32_e32 v4, v0, v2
	s_waitcnt vmcnt(0)
	v_subrev_nc_u32_e32 v19, s33, v7
	v_cmp_lt_i32_e32 vcc_lo, v4, v19
	s_and_b32 exec_lo, exec_lo, vcc_lo
	s_cbranch_execz .LBB6_3
; %bb.6:                                ;   in Loop: Header=BB6_4 Depth=1
	v_add_co_u32 v7, vcc_lo, s16, v5
	v_add_co_ci_u32_e64 v8, null, s17, v6, vcc_lo
	v_add_co_u32 v5, vcc_lo, s18, v5
	v_add_co_ci_u32_e64 v6, null, s19, v6, vcc_lo
	global_load_dword v2, v[7:8], off
	s_mov_b32 s36, 0
	global_load_dword v5, v[5:6], off
	s_waitcnt vmcnt(1)
	v_subrev_nc_u32_e32 v6, s34, v2
	s_waitcnt vmcnt(0)
	v_sub_nc_u32_e32 v20, v5, v2
	v_ashrrev_i32_e32 v7, 31, v6
	v_cmp_lt_i32_e64 s0, 0, v20
	v_lshlrev_b64 v[7:8], 2, v[6:7]
	v_add_co_u32 v21, vcc_lo, s20, v7
	v_add_co_ci_u32_e64 v22, null, s21, v8, vcc_lo
	v_add_co_u32 v23, vcc_lo, s22, v7
	v_add_co_ci_u32_e64 v24, null, s23, v8, vcc_lo
	s_branch .LBB6_8
.LBB6_7:                                ;   in Loop: Header=BB6_8 Depth=2
	s_or_b32 exec_lo, exec_lo, s37
	v_add_nc_u32_e32 v4, 64, v4
	v_cmp_ge_i32_e32 vcc_lo, v4, v19
	s_or_b32 s36, vcc_lo, s36
	s_andn2_b32 exec_lo, exec_lo, s36
	s_cbranch_execz .LBB6_3
.LBB6_8:                                ;   Parent Loop BB6_4 Depth=1
                                        ; =>  This Loop Header: Depth=2
                                        ;       Child Loop BB6_12 Depth 3
                                        ;       Child Loop BB6_26 Depth 3
	;; [unrolled: 1-line block ×3, first 2 shown]
	v_ashrrev_i32_e32 v5, 31, v4
	v_mov_b32_e32 v25, 0
	v_lshlrev_b64 v[13:14], 2, v[4:5]
	v_add_co_u32 v7, vcc_lo, s28, v13
	v_add_co_ci_u32_e64 v8, null, s29, v14, vcc_lo
	global_load_dword v2, v[7:8], off
	s_waitcnt vmcnt(0)
	v_subrev_nc_u32_e32 v7, s33, v2
	v_ashrrev_i32_e32 v8, 31, v7
	v_lshlrev_b64 v[11:12], 2, v[7:8]
	v_add_co_u32 v8, vcc_lo, s8, v11
	v_add_co_ci_u32_e64 v9, null, s9, v12, vcc_lo
	v_add_co_u32 v15, vcc_lo, s10, v11
	v_add_co_ci_u32_e64 v16, null, s11, v12, vcc_lo
	global_load_dword v2, v[8:9], off
	global_load_dword v5, v[15:16], off
	v_mov_b32_e32 v9, 0
	s_waitcnt vmcnt(1)
	v_subrev_nc_u32_e32 v8, s4, v2
	s_waitcnt vmcnt(0)
	v_sub_nc_u32_e32 v5, v5, v2
	v_mov_b32_e32 v2, v9
	s_and_saveexec_b32 s37, s0
	s_cbranch_execz .LBB6_16
; %bb.9:                                ;   in Loop: Header=BB6_8 Depth=2
	v_ashrrev_i32_e32 v9, 31, v8
	v_mov_b32_e32 v25, 0
	v_mov_b32_e32 v2, 0
	s_mov_b32 s38, 0
                                        ; implicit-def: $sgpr39
	v_lshlrev_b64 v[9:10], 2, v[8:9]
	v_add_co_u32 v26, vcc_lo, s12, v9
	v_add_co_ci_u32_e64 v27, null, s13, v10, vcc_lo
	v_add_co_u32 v28, vcc_lo, s14, v9
	v_add_co_ci_u32_e64 v29, null, s15, v10, vcc_lo
	v_mov_b32_e32 v9, 0
	s_branch .LBB6_12
.LBB6_10:                               ;   in Loop: Header=BB6_12 Depth=3
	s_or_b32 exec_lo, exec_lo, s1
	v_cmp_le_i32_e32 vcc_lo, v10, v30
	v_cmp_ge_i32_e64 s1, v10, v30
	v_add_co_ci_u32_e64 v2, null, 0, v2, vcc_lo
	v_add_co_ci_u32_e64 v9, null, 0, v9, s1
	s_andn2_b32 s1, s39, exec_lo
	v_cmp_ge_i32_e32 vcc_lo, v2, v20
	s_and_b32 s39, vcc_lo, exec_lo
	s_or_b32 s39, s1, s39
.LBB6_11:                               ;   in Loop: Header=BB6_12 Depth=3
	s_or_b32 exec_lo, exec_lo, s40
	s_and_b32 s1, exec_lo, s39
	s_or_b32 s38, s1, s38
	s_andn2_b32 exec_lo, exec_lo, s38
	s_cbranch_execz .LBB6_15
.LBB6_12:                               ;   Parent Loop BB6_4 Depth=1
                                        ;     Parent Loop BB6_8 Depth=2
                                        ; =>    This Inner Loop Header: Depth=3
	s_or_b32 s39, s39, exec_lo
	s_mov_b32 s40, exec_lo
	v_cmpx_lt_i32_e64 v9, v5
	s_cbranch_execz .LBB6_11
; %bb.13:                               ;   in Loop: Header=BB6_12 Depth=3
	v_mov_b32_e32 v10, v3
	v_lshlrev_b64 v[17:18], 2, v[2:3]
	s_mov_b32 s1, exec_lo
	v_lshlrev_b64 v[15:16], 2, v[9:10]
	v_add_co_u32 v30, vcc_lo, v21, v17
	v_add_co_ci_u32_e64 v31, null, v22, v18, vcc_lo
	v_add_co_u32 v32, vcc_lo, v26, v15
	v_add_co_ci_u32_e64 v33, null, v27, v16, vcc_lo
	global_load_dword v10, v[30:31], off
	global_load_dword v30, v[32:33], off
	s_waitcnt vmcnt(1)
	v_subrev_nc_u32_e32 v10, s34, v10
	s_waitcnt vmcnt(0)
	v_subrev_nc_u32_e32 v30, s4, v30
	v_cmpx_eq_u32_e64 v10, v30
	s_cbranch_execz .LBB6_10
; %bb.14:                               ;   in Loop: Header=BB6_12 Depth=3
	v_add_co_u32 v17, vcc_lo, v23, v17
	v_add_co_ci_u32_e64 v18, null, v24, v18, vcc_lo
	v_add_co_u32 v15, vcc_lo, v28, v15
	v_add_co_ci_u32_e64 v16, null, v29, v16, vcc_lo
	global_load_dword v17, v[17:18], off
	global_load_dword v15, v[15:16], off
	s_waitcnt vmcnt(0)
	v_fmac_f32_e32 v25, v17, v15
	s_branch .LBB6_10
.LBB6_15:                               ;   in Loop: Header=BB6_8 Depth=2
	s_or_b32 exec_lo, exec_lo, s38
.LBB6_16:                               ;   in Loop: Header=BB6_8 Depth=2
	s_or_b32 exec_lo, exec_lo, s37
	v_add_co_u32 v13, vcc_lo, s30, v13
	v_add_co_ci_u32_e64 v14, null, s31, v14, vcc_lo
	v_cmp_le_i32_e64 s1, v1, v7
	s_mov_b32 s37, exec_lo
	global_load_dword v10, v[13:14], off
	s_waitcnt vmcnt(0)
	v_sub_f32_e32 v13, v10, v25
	v_cmpx_gt_i32_e64 v1, v7
	s_cbranch_execz .LBB6_18
; %bb.17:                               ;   in Loop: Header=BB6_8 Depth=2
	v_add_co_u32 v14, vcc_lo, s2, v11
	v_add_co_ci_u32_e64 v15, null, s3, v12, vcc_lo
	global_load_dword v10, v[14:15], off
	s_waitcnt vmcnt(0)
	v_div_scale_f32 v14, null, v10, v10, v13
	v_rcp_f32_e32 v15, v14
	v_fma_f32 v16, -v14, v15, 1.0
	v_fmac_f32_e32 v15, v16, v15
	v_div_scale_f32 v16, vcc_lo, v13, v10, v13
	v_mul_f32_e32 v17, v16, v15
	v_fma_f32 v18, -v14, v17, v16
	v_fmac_f32_e32 v17, v18, v15
	v_fma_f32 v14, -v14, v17, v16
	v_div_fmas_f32 v14, v14, v15, v17
	v_div_fixup_f32 v13, v14, v10, v13
.LBB6_18:                               ;   in Loop: Header=BB6_8 Depth=2
	s_or_b32 exec_lo, exec_lo, s37
	v_cmp_class_f32_e64 s38, v13, 0x1f8
	s_and_saveexec_b32 s37, s38
	s_cbranch_execz .LBB6_7
; %bb.19:                               ;   in Loop: Header=BB6_8 Depth=2
	s_and_saveexec_b32 s38, s1
	s_xor_b32 s1, exec_lo, s38
	s_cbranch_execz .LBB6_32
; %bb.20:                               ;   in Loop: Header=BB6_8 Depth=2
	s_mov_b32 s38, exec_lo
	v_cmpx_ge_i32_e64 v1, v7
	s_xor_b32 s38, exec_lo, s38
	s_cbranch_execz .LBB6_22
; %bb.21:                               ;   in Loop: Header=BB6_8 Depth=2
	v_add_co_u32 v7, vcc_lo, s2, v11
	v_add_co_ci_u32_e64 v8, null, s3, v12, vcc_lo
                                        ; implicit-def: $vgpr9
                                        ; implicit-def: $vgpr5
	global_store_dword v[7:8], v13, off
                                        ; implicit-def: $vgpr13
                                        ; implicit-def: $vgpr8
.LBB6_22:                               ;   in Loop: Header=BB6_8 Depth=2
	s_andn2_saveexec_b32 s38, s38
	s_cbranch_execz .LBB6_31
; %bb.23:                               ;   in Loop: Header=BB6_8 Depth=2
	s_mov_b32 s39, exec_lo
	v_cmpx_lt_i32_e64 v9, v5
	s_cbranch_execz .LBB6_30
; %bb.24:                               ;   in Loop: Header=BB6_8 Depth=2
	s_mov_b32 s40, 0
                                        ; implicit-def: $sgpr41
                                        ; implicit-def: $sgpr43
                                        ; implicit-def: $sgpr42
	s_inst_prefetch 0x1
	s_branch .LBB6_26
	.p2align	6
.LBB6_25:                               ;   in Loop: Header=BB6_26 Depth=3
	s_or_b32 exec_lo, exec_lo, s44
	s_and_b32 s44, exec_lo, s43
	s_or_b32 s40, s44, s40
	s_andn2_b32 s41, s41, exec_lo
	s_and_b32 s44, s42, exec_lo
	s_or_b32 s41, s41, s44
	s_andn2_b32 exec_lo, exec_lo, s40
	s_cbranch_execz .LBB6_28
.LBB6_26:                               ;   Parent Loop BB6_4 Depth=1
                                        ;     Parent Loop BB6_8 Depth=2
                                        ; =>    This Inner Loop Header: Depth=3
	v_add_nc_u32_e32 v10, v8, v9
	s_or_b32 s42, s42, exec_lo
	s_or_b32 s43, s43, exec_lo
	s_mov_b32 s44, exec_lo
	v_ashrrev_i32_e32 v11, 31, v10
	v_lshlrev_b64 v[10:11], 2, v[10:11]
	v_add_co_u32 v14, vcc_lo, s12, v10
	v_add_co_ci_u32_e64 v15, null, s13, v11, vcc_lo
	global_load_dword v2, v[14:15], off
	s_waitcnt vmcnt(0)
	v_subrev_nc_u32_e32 v2, s4, v2
	v_cmpx_ne_u32_e64 v2, v1
	s_cbranch_execz .LBB6_25
; %bb.27:                               ;   in Loop: Header=BB6_26 Depth=3
	v_add_nc_u32_e32 v9, 1, v9
	s_andn2_b32 s43, s43, exec_lo
	s_andn2_b32 s42, s42, exec_lo
	v_cmp_ge_i32_e32 vcc_lo, v9, v5
	s_and_b32 s45, vcc_lo, exec_lo
	s_or_b32 s43, s43, s45
	s_branch .LBB6_25
.LBB6_28:                               ;   in Loop: Header=BB6_8 Depth=2
	s_inst_prefetch 0x2
	s_or_b32 exec_lo, exec_lo, s40
	s_and_saveexec_b32 s40, s41
	s_xor_b32 s40, exec_lo, s40
	s_cbranch_execz .LBB6_30
; %bb.29:                               ;   in Loop: Header=BB6_8 Depth=2
	v_add_co_u32 v7, vcc_lo, s14, v10
	v_add_co_ci_u32_e64 v8, null, s15, v11, vcc_lo
	global_store_dword v[7:8], v13, off
.LBB6_30:                               ;   in Loop: Header=BB6_8 Depth=2
	s_or_b32 exec_lo, exec_lo, s39
.LBB6_31:                               ;   in Loop: Header=BB6_8 Depth=2
	s_or_b32 exec_lo, exec_lo, s38
                                        ; implicit-def: $vgpr13
                                        ; implicit-def: $vgpr7_vgpr8
.LBB6_32:                               ;   in Loop: Header=BB6_8 Depth=2
	s_andn2_saveexec_b32 s1, s1
	s_cbranch_execz .LBB6_7
; %bb.33:                               ;   in Loop: Header=BB6_8 Depth=2
	v_cmp_lt_i32_e32 vcc_lo, v2, v20
	s_and_b32 exec_lo, exec_lo, vcc_lo
	s_cbranch_execz .LBB6_7
; %bb.34:                               ;   in Loop: Header=BB6_8 Depth=2
	s_mov_b32 s1, 0
                                        ; implicit-def: $sgpr38
                                        ; implicit-def: $sgpr40
                                        ; implicit-def: $sgpr39
	s_inst_prefetch 0x1
	s_branch .LBB6_36
	.p2align	6
.LBB6_35:                               ;   in Loop: Header=BB6_36 Depth=3
	s_or_b32 exec_lo, exec_lo, s41
	s_and_b32 s41, exec_lo, s40
	s_or_b32 s1, s41, s1
	s_andn2_b32 s38, s38, exec_lo
	s_and_b32 s41, s39, exec_lo
	s_or_b32 s38, s38, s41
	s_andn2_b32 exec_lo, exec_lo, s1
	s_cbranch_execz .LBB6_38
.LBB6_36:                               ;   Parent Loop BB6_4 Depth=1
                                        ;     Parent Loop BB6_8 Depth=2
                                        ; =>    This Inner Loop Header: Depth=3
	v_add_nc_u32_e32 v8, v6, v2
	s_or_b32 s39, s39, exec_lo
	s_or_b32 s40, s40, exec_lo
	s_mov_b32 s41, exec_lo
	v_ashrrev_i32_e32 v9, 31, v8
	v_lshlrev_b64 v[8:9], 2, v[8:9]
	v_add_co_u32 v10, vcc_lo, s20, v8
	v_add_co_ci_u32_e64 v11, null, s21, v9, vcc_lo
	global_load_dword v5, v[10:11], off
	s_waitcnt vmcnt(0)
	v_subrev_nc_u32_e32 v5, s34, v5
	v_cmpx_ne_u32_e64 v5, v7
	s_cbranch_execz .LBB6_35
; %bb.37:                               ;   in Loop: Header=BB6_36 Depth=3
	v_add_nc_u32_e32 v2, 1, v2
	s_andn2_b32 s40, s40, exec_lo
	s_andn2_b32 s39, s39, exec_lo
	v_cmp_ge_i32_e32 vcc_lo, v2, v20
	s_and_b32 s42, vcc_lo, exec_lo
	s_or_b32 s40, s40, s42
	s_branch .LBB6_35
.LBB6_38:                               ;   in Loop: Header=BB6_8 Depth=2
	s_inst_prefetch 0x2
	s_or_b32 exec_lo, exec_lo, s1
	s_and_saveexec_b32 s1, s38
	s_xor_b32 s1, exec_lo, s1
	s_cbranch_execz .LBB6_7
; %bb.39:                               ;   in Loop: Header=BB6_8 Depth=2
	v_add_co_u32 v7, vcc_lo, s22, v8
	v_add_co_ci_u32_e64 v8, null, s23, v9, vcc_lo
	global_store_dword v[7:8], v13, off
	s_branch .LBB6_7
.LBB6_40:
	s_endpgm
	.section	.rodata,"a",@progbits
	.p2align	6, 0x0
	.amdhsa_kernel _ZN9rocsparseL25kernel_correction_no_normILi1024ELi64EfiiEEvT3_T2_PKS2_S4_PKS1_PKT1_21rocsparse_index_base_S4_S4_S6_PS7_SA_S4_S4_S6_SB_SA_SB_
		.amdhsa_group_segment_fixed_size 0
		.amdhsa_private_segment_fixed_size 0
		.amdhsa_kernarg_size 136
		.amdhsa_user_sgpr_count 6
		.amdhsa_user_sgpr_private_segment_buffer 1
		.amdhsa_user_sgpr_dispatch_ptr 0
		.amdhsa_user_sgpr_queue_ptr 0
		.amdhsa_user_sgpr_kernarg_segment_ptr 1
		.amdhsa_user_sgpr_dispatch_id 0
		.amdhsa_user_sgpr_flat_scratch_init 0
		.amdhsa_user_sgpr_private_segment_size 0
		.amdhsa_wavefront_size32 1
		.amdhsa_uses_dynamic_stack 0
		.amdhsa_system_sgpr_private_segment_wavefront_offset 0
		.amdhsa_system_sgpr_workgroup_id_x 1
		.amdhsa_system_sgpr_workgroup_id_y 0
		.amdhsa_system_sgpr_workgroup_id_z 0
		.amdhsa_system_sgpr_workgroup_info 0
		.amdhsa_system_vgpr_workitem_id 0
		.amdhsa_next_free_vgpr 34
		.amdhsa_next_free_sgpr 46
		.amdhsa_reserve_vcc 1
		.amdhsa_reserve_flat_scratch 0
		.amdhsa_float_round_mode_32 0
		.amdhsa_float_round_mode_16_64 0
		.amdhsa_float_denorm_mode_32 3
		.amdhsa_float_denorm_mode_16_64 3
		.amdhsa_dx10_clamp 1
		.amdhsa_ieee_mode 1
		.amdhsa_fp16_overflow 0
		.amdhsa_workgroup_processor_mode 1
		.amdhsa_memory_ordered 1
		.amdhsa_forward_progress 1
		.amdhsa_shared_vgpr_count 0
		.amdhsa_exception_fp_ieee_invalid_op 0
		.amdhsa_exception_fp_denorm_src 0
		.amdhsa_exception_fp_ieee_div_zero 0
		.amdhsa_exception_fp_ieee_overflow 0
		.amdhsa_exception_fp_ieee_underflow 0
		.amdhsa_exception_fp_ieee_inexact 0
		.amdhsa_exception_int_div_zero 0
	.end_amdhsa_kernel
	.section	.text._ZN9rocsparseL25kernel_correction_no_normILi1024ELi64EfiiEEvT3_T2_PKS2_S4_PKS1_PKT1_21rocsparse_index_base_S4_S4_S6_PS7_SA_S4_S4_S6_SB_SA_SB_,"axG",@progbits,_ZN9rocsparseL25kernel_correction_no_normILi1024ELi64EfiiEEvT3_T2_PKS2_S4_PKS1_PKT1_21rocsparse_index_base_S4_S4_S6_PS7_SA_S4_S4_S6_SB_SA_SB_,comdat
.Lfunc_end6:
	.size	_ZN9rocsparseL25kernel_correction_no_normILi1024ELi64EfiiEEvT3_T2_PKS2_S4_PKS1_PKT1_21rocsparse_index_base_S4_S4_S6_PS7_SA_S4_S4_S6_SB_SA_SB_, .Lfunc_end6-_ZN9rocsparseL25kernel_correction_no_normILi1024ELi64EfiiEEvT3_T2_PKS2_S4_PKS1_PKT1_21rocsparse_index_base_S4_S4_S6_PS7_SA_S4_S4_S6_SB_SA_SB_
                                        ; -- End function
	.set _ZN9rocsparseL25kernel_correction_no_normILi1024ELi64EfiiEEvT3_T2_PKS2_S4_PKS1_PKT1_21rocsparse_index_base_S4_S4_S6_PS7_SA_S4_S4_S6_SB_SA_SB_.num_vgpr, 34
	.set _ZN9rocsparseL25kernel_correction_no_normILi1024ELi64EfiiEEvT3_T2_PKS2_S4_PKS1_PKT1_21rocsparse_index_base_S4_S4_S6_PS7_SA_S4_S4_S6_SB_SA_SB_.num_agpr, 0
	.set _ZN9rocsparseL25kernel_correction_no_normILi1024ELi64EfiiEEvT3_T2_PKS2_S4_PKS1_PKT1_21rocsparse_index_base_S4_S4_S6_PS7_SA_S4_S4_S6_SB_SA_SB_.numbered_sgpr, 46
	.set _ZN9rocsparseL25kernel_correction_no_normILi1024ELi64EfiiEEvT3_T2_PKS2_S4_PKS1_PKT1_21rocsparse_index_base_S4_S4_S6_PS7_SA_S4_S4_S6_SB_SA_SB_.num_named_barrier, 0
	.set _ZN9rocsparseL25kernel_correction_no_normILi1024ELi64EfiiEEvT3_T2_PKS2_S4_PKS1_PKT1_21rocsparse_index_base_S4_S4_S6_PS7_SA_S4_S4_S6_SB_SA_SB_.private_seg_size, 0
	.set _ZN9rocsparseL25kernel_correction_no_normILi1024ELi64EfiiEEvT3_T2_PKS2_S4_PKS1_PKT1_21rocsparse_index_base_S4_S4_S6_PS7_SA_S4_S4_S6_SB_SA_SB_.uses_vcc, 1
	.set _ZN9rocsparseL25kernel_correction_no_normILi1024ELi64EfiiEEvT3_T2_PKS2_S4_PKS1_PKT1_21rocsparse_index_base_S4_S4_S6_PS7_SA_S4_S4_S6_SB_SA_SB_.uses_flat_scratch, 0
	.set _ZN9rocsparseL25kernel_correction_no_normILi1024ELi64EfiiEEvT3_T2_PKS2_S4_PKS1_PKT1_21rocsparse_index_base_S4_S4_S6_PS7_SA_S4_S4_S6_SB_SA_SB_.has_dyn_sized_stack, 0
	.set _ZN9rocsparseL25kernel_correction_no_normILi1024ELi64EfiiEEvT3_T2_PKS2_S4_PKS1_PKT1_21rocsparse_index_base_S4_S4_S6_PS7_SA_S4_S4_S6_SB_SA_SB_.has_recursion, 0
	.set _ZN9rocsparseL25kernel_correction_no_normILi1024ELi64EfiiEEvT3_T2_PKS2_S4_PKS1_PKT1_21rocsparse_index_base_S4_S4_S6_PS7_SA_S4_S4_S6_SB_SA_SB_.has_indirect_call, 0
	.section	.AMDGPU.csdata,"",@progbits
; Kernel info:
; codeLenInByte = 1592
; TotalNumSgprs: 48
; NumVgprs: 34
; ScratchSize: 0
; MemoryBound: 0
; FloatMode: 240
; IeeeMode: 1
; LDSByteSize: 0 bytes/workgroup (compile time only)
; SGPRBlocks: 0
; VGPRBlocks: 4
; NumSGPRsForWavesPerEU: 48
; NumVGPRsForWavesPerEU: 34
; Occupancy: 16
; WaveLimiterHint : 1
; COMPUTE_PGM_RSRC2:SCRATCH_EN: 0
; COMPUTE_PGM_RSRC2:USER_SGPR: 6
; COMPUTE_PGM_RSRC2:TRAP_HANDLER: 0
; COMPUTE_PGM_RSRC2:TGID_X_EN: 1
; COMPUTE_PGM_RSRC2:TGID_Y_EN: 0
; COMPUTE_PGM_RSRC2:TGID_Z_EN: 0
; COMPUTE_PGM_RSRC2:TIDIG_COMP_CNT: 0
	.section	.text._ZN9rocsparseL17kernel_correctionILi1024ELi1EfiiEEvT3_T2_PKS2_S4_PKS1_PKT1_21rocsparse_index_base_S4_S4_S6_PS7_SA_S4_S4_S6_SB_SA_SB_PNS_15floating_traitsIS7_E6data_tEPKSE_,"axG",@progbits,_ZN9rocsparseL17kernel_correctionILi1024ELi1EfiiEEvT3_T2_PKS2_S4_PKS1_PKT1_21rocsparse_index_base_S4_S4_S6_PS7_SA_S4_S4_S6_SB_SA_SB_PNS_15floating_traitsIS7_E6data_tEPKSE_,comdat
	.globl	_ZN9rocsparseL17kernel_correctionILi1024ELi1EfiiEEvT3_T2_PKS2_S4_PKS1_PKT1_21rocsparse_index_base_S4_S4_S6_PS7_SA_S4_S4_S6_SB_SA_SB_PNS_15floating_traitsIS7_E6data_tEPKSE_ ; -- Begin function _ZN9rocsparseL17kernel_correctionILi1024ELi1EfiiEEvT3_T2_PKS2_S4_PKS1_PKT1_21rocsparse_index_base_S4_S4_S6_PS7_SA_S4_S4_S6_SB_SA_SB_PNS_15floating_traitsIS7_E6data_tEPKSE_
	.p2align	8
	.type	_ZN9rocsparseL17kernel_correctionILi1024ELi1EfiiEEvT3_T2_PKS2_S4_PKS1_PKT1_21rocsparse_index_base_S4_S4_S6_PS7_SA_S4_S4_S6_SB_SA_SB_PNS_15floating_traitsIS7_E6data_tEPKSE_,@function
_ZN9rocsparseL17kernel_correctionILi1024ELi1EfiiEEvT3_T2_PKS2_S4_PKS1_PKT1_21rocsparse_index_base_S4_S4_S6_PS7_SA_S4_S4_S6_SB_SA_SB_PNS_15floating_traitsIS7_E6data_tEPKSE_: ; @_ZN9rocsparseL17kernel_correctionILi1024ELi1EfiiEEvT3_T2_PKS2_S4_PKS1_PKT1_21rocsparse_index_base_S4_S4_S6_PS7_SA_S4_S4_S6_SB_SA_SB_PNS_15floating_traitsIS7_E6data_tEPKSE_
; %bb.0:
	s_load_dword s33, s[4:5], 0x0
	s_lshl_b32 s35, s6, 10
	v_mov_b32_e32 v18, 0
	v_or_b32_e32 v1, s35, v0
	s_mov_b32 s3, exec_lo
	s_waitcnt lgkmcnt(0)
	v_cmpx_gt_i32_e64 s33, v1
	s_cbranch_execz .LBB7_64
; %bb.1:
	v_mov_b32_e32 v18, 0
	s_addk_i32 s35, 0x400
	s_mov_b32 s34, exec_lo
	v_cmpx_gt_u32_e64 s35, v1
	s_cbranch_execz .LBB7_63
; %bb.2:
	s_clause 0x6
	s_load_dwordx8 s[8:15], s[4:5], 0x58
	s_load_dwordx8 s[16:23], s[4:5], 0x30
	;; [unrolled: 1-line block ×3, first 2 shown]
	s_load_dword s36, s[4:5], 0x28
	s_load_dword s37, s[4:5], 0x50
	s_load_dwordx2 s[6:7], s[4:5], 0x80
	s_load_dword s38, s[4:5], 0x78
	v_mov_b32_e32 v3, 0
	v_mov_b32_e32 v18, 0
	s_mov_b32 s39, 0
	s_branch .LBB7_6
.LBB7_3:                                ;   in Loop: Header=BB7_6 Depth=1
	s_or_b32 exec_lo, exec_lo, s42
.LBB7_4:                                ;   in Loop: Header=BB7_6 Depth=1
	s_or_b32 exec_lo, exec_lo, s41
.LBB7_5:                                ;   in Loop: Header=BB7_6 Depth=1
	s_or_b32 exec_lo, exec_lo, s40
	v_add_nc_u32_e32 v1, 0x400, v1
	v_cmp_le_u32_e32 vcc_lo, s35, v1
	s_or_b32 s39, vcc_lo, s39
	s_andn2_b32 exec_lo, exec_lo, s39
	s_cbranch_execz .LBB7_62
.LBB7_6:                                ; =>This Loop Header: Depth=1
                                        ;     Child Loop BB7_10 Depth 2
                                        ;       Child Loop BB7_14 Depth 3
                                        ;       Child Loop BB7_27 Depth 3
	;; [unrolled: 1-line block ×5, first 2 shown]
	s_mov_b32 s40, exec_lo
	v_cmpx_gt_i32_e64 s33, v1
	s_cbranch_execz .LBB7_5
; %bb.7:                                ;   in Loop: Header=BB7_6 Depth=1
	v_ashrrev_i32_e32 v2, 31, v1
	s_mov_b32 s41, exec_lo
	v_lshlrev_b64 v[4:5], 2, v[1:2]
	s_waitcnt lgkmcnt(0)
	v_add_co_u32 v6, vcc_lo, s24, v4
	v_add_co_ci_u32_e64 v7, null, s25, v5, vcc_lo
	v_add_co_u32 v8, vcc_lo, s26, v4
	v_add_co_ci_u32_e64 v9, null, s27, v5, vcc_lo
	global_load_dword v2, v[6:7], off
	global_load_dword v6, v[8:9], off
	s_waitcnt vmcnt(0)
	v_cmpx_lt_i32_e64 v2, v6
	s_cbranch_execz .LBB7_4
; %bb.8:                                ;   in Loop: Header=BB7_6 Depth=1
	v_add_co_u32 v7, vcc_lo, s16, v4
	v_add_co_ci_u32_e64 v8, null, s17, v5, vcc_lo
	v_add_co_u32 v4, vcc_lo, s18, v4
	v_add_co_ci_u32_e64 v5, null, s19, v5, vcc_lo
	global_load_dword v9, v[7:8], off
	v_subrev_nc_u32_e32 v19, s36, v6
	s_mov_b32 s42, 0
	global_load_dword v10, v[4:5], off
	s_waitcnt vmcnt(1)
	v_subrev_nc_u32_e32 v4, s37, v9
	s_waitcnt vmcnt(0)
	v_sub_nc_u32_e32 v20, v10, v9
	v_ashrrev_i32_e32 v5, 31, v4
	v_cmp_lt_i32_e64 s0, 0, v20
	v_lshlrev_b64 v[7:8], 2, v[4:5]
	v_subrev_nc_u32_e32 v5, s36, v2
	v_add_co_u32 v21, vcc_lo, s20, v7
	v_add_co_ci_u32_e64 v22, null, s21, v8, vcc_lo
	v_add_co_u32 v23, vcc_lo, s22, v7
	v_add_co_ci_u32_e64 v24, null, s23, v8, vcc_lo
	s_branch .LBB7_10
.LBB7_9:                                ;   in Loop: Header=BB7_10 Depth=2
	s_or_b32 exec_lo, exec_lo, s2
	v_sub_f32_e32 v2, v14, v25
	v_add_nc_u32_e32 v5, 1, v5
	v_cmp_nlg_f32_e64 s1, 0x7f800000, |v2|
	v_cmp_gt_f32_e64 s2, v18, |v2|
	v_cmp_ge_i32_e32 vcc_lo, v5, v19
	s_or_b32 s1, s1, s2
	s_or_b32 s42, vcc_lo, s42
	v_cndmask_b32_e64 v18, |v2|, v18, s1
	s_andn2_b32 exec_lo, exec_lo, s42
	s_cbranch_execz .LBB7_3
.LBB7_10:                               ;   Parent Loop BB7_6 Depth=1
                                        ; =>  This Loop Header: Depth=2
                                        ;       Child Loop BB7_14 Depth 3
                                        ;       Child Loop BB7_27 Depth 3
	;; [unrolled: 1-line block ×5, first 2 shown]
	v_ashrrev_i32_e32 v6, 31, v5
	v_mov_b32_e32 v25, 0
	v_lshlrev_b64 v[12:13], 2, v[5:6]
	v_add_co_u32 v6, vcc_lo, s28, v12
	v_add_co_ci_u32_e64 v7, null, s29, v13, vcc_lo
	global_load_dword v2, v[6:7], off
	s_waitcnt vmcnt(0)
	v_subrev_nc_u32_e32 v6, s36, v2
	v_ashrrev_i32_e32 v7, 31, v6
	v_lshlrev_b64 v[10:11], 2, v[6:7]
	v_add_co_u32 v7, vcc_lo, s8, v10
	v_add_co_ci_u32_e64 v8, null, s9, v11, vcc_lo
	v_add_co_u32 v14, vcc_lo, s10, v10
	v_add_co_ci_u32_e64 v15, null, s11, v11, vcc_lo
	global_load_dword v2, v[7:8], off
	global_load_dword v9, v[14:15], off
	v_mov_b32_e32 v8, 0
	s_waitcnt vmcnt(1)
	v_subrev_nc_u32_e32 v7, s38, v2
	s_waitcnt vmcnt(0)
	v_sub_nc_u32_e32 v26, v9, v2
	v_mov_b32_e32 v2, v8
	s_and_saveexec_b32 s2, s0
	s_cbranch_execz .LBB7_18
; %bb.11:                               ;   in Loop: Header=BB7_10 Depth=2
	v_ashrrev_i32_e32 v8, 31, v7
	v_mov_b32_e32 v25, 0
	v_mov_b32_e32 v2, 0
	s_mov_b32 s43, 0
                                        ; implicit-def: $sgpr44
	v_lshlrev_b64 v[8:9], 2, v[7:8]
	v_add_co_u32 v27, vcc_lo, s12, v8
	v_add_co_ci_u32_e64 v28, null, s13, v9, vcc_lo
	v_add_co_u32 v29, vcc_lo, s14, v8
	v_add_co_ci_u32_e64 v30, null, s15, v9, vcc_lo
	v_mov_b32_e32 v8, 0
	s_branch .LBB7_14
.LBB7_12:                               ;   in Loop: Header=BB7_14 Depth=3
	s_or_b32 exec_lo, exec_lo, s1
	v_cmp_le_i32_e32 vcc_lo, v9, v31
	v_cmp_ge_i32_e64 s1, v9, v31
	v_add_co_ci_u32_e64 v2, null, 0, v2, vcc_lo
	v_add_co_ci_u32_e64 v8, null, 0, v8, s1
	s_andn2_b32 s1, s44, exec_lo
	v_cmp_ge_i32_e32 vcc_lo, v2, v20
	s_and_b32 s44, vcc_lo, exec_lo
	s_or_b32 s44, s1, s44
.LBB7_13:                               ;   in Loop: Header=BB7_14 Depth=3
	s_or_b32 exec_lo, exec_lo, s45
	s_and_b32 s1, exec_lo, s44
	s_or_b32 s43, s1, s43
	s_andn2_b32 exec_lo, exec_lo, s43
	s_cbranch_execz .LBB7_17
.LBB7_14:                               ;   Parent Loop BB7_6 Depth=1
                                        ;     Parent Loop BB7_10 Depth=2
                                        ; =>    This Inner Loop Header: Depth=3
	s_or_b32 s44, s44, exec_lo
	s_mov_b32 s45, exec_lo
	v_cmpx_lt_i32_e64 v8, v26
	s_cbranch_execz .LBB7_13
; %bb.15:                               ;   in Loop: Header=BB7_14 Depth=3
	v_mov_b32_e32 v9, v3
	v_lshlrev_b64 v[16:17], 2, v[2:3]
	s_mov_b32 s1, exec_lo
	v_lshlrev_b64 v[14:15], 2, v[8:9]
	v_add_co_u32 v31, vcc_lo, v21, v16
	v_add_co_ci_u32_e64 v32, null, v22, v17, vcc_lo
	v_add_co_u32 v33, vcc_lo, v27, v14
	v_add_co_ci_u32_e64 v34, null, v28, v15, vcc_lo
	global_load_dword v9, v[31:32], off
	global_load_dword v31, v[33:34], off
	s_waitcnt vmcnt(1)
	v_subrev_nc_u32_e32 v9, s37, v9
	s_waitcnt vmcnt(0)
	v_subrev_nc_u32_e32 v31, s38, v31
	v_cmpx_eq_u32_e64 v9, v31
	s_cbranch_execz .LBB7_12
; %bb.16:                               ;   in Loop: Header=BB7_14 Depth=3
	v_add_co_u32 v16, vcc_lo, v23, v16
	v_add_co_ci_u32_e64 v17, null, v24, v17, vcc_lo
	v_add_co_u32 v14, vcc_lo, v29, v14
	v_add_co_ci_u32_e64 v15, null, v30, v15, vcc_lo
	global_load_dword v16, v[16:17], off
	global_load_dword v14, v[14:15], off
	s_waitcnt vmcnt(0)
	v_fmac_f32_e32 v25, v16, v14
	s_branch .LBB7_12
.LBB7_17:                               ;   in Loop: Header=BB7_10 Depth=2
	s_or_b32 exec_lo, exec_lo, s43
.LBB7_18:                               ;   in Loop: Header=BB7_10 Depth=2
	s_or_b32 exec_lo, exec_lo, s2
	v_add_co_u32 v12, vcc_lo, s30, v12
	v_add_co_ci_u32_e64 v13, null, s31, v13, vcc_lo
	v_cmp_le_i32_e64 s1, v1, v6
	s_mov_b32 s2, exec_lo
	global_load_dword v14, v[12:13], off
	s_waitcnt vmcnt(0)
	v_sub_f32_e32 v15, v14, v25
	v_cmpx_gt_i32_e64 v1, v6
	s_cbranch_execz .LBB7_20
; %bb.19:                               ;   in Loop: Header=BB7_10 Depth=2
	v_add_co_u32 v12, vcc_lo, s6, v10
	v_add_co_ci_u32_e64 v13, null, s7, v11, vcc_lo
	global_load_dword v9, v[12:13], off
	s_waitcnt vmcnt(0)
	v_div_scale_f32 v12, null, v9, v9, v15
	v_rcp_f32_e32 v13, v12
	v_fma_f32 v16, -v12, v13, 1.0
	v_fmac_f32_e32 v13, v16, v13
	v_div_scale_f32 v16, vcc_lo, v15, v9, v15
	v_mul_f32_e32 v17, v16, v13
	v_fma_f32 v27, -v12, v17, v16
	v_fmac_f32_e32 v17, v27, v13
	v_fma_f32 v12, -v12, v17, v16
	v_div_fmas_f32 v12, v12, v13, v17
	v_div_fixup_f32 v15, v12, v9, v15
.LBB7_20:                               ;   in Loop: Header=BB7_10 Depth=2
	s_or_b32 exec_lo, exec_lo, s2
	s_mov_b32 s43, exec_lo
	v_cmp_lt_i32_e32 vcc_lo, v8, v26
	v_cmpx_ge_i32_e64 v8, v26
	s_xor_b32 s43, exec_lo, s43
	s_cbranch_execnz .LBB7_24
; %bb.21:                               ;   in Loop: Header=BB7_10 Depth=2
	s_andn2_saveexec_b32 s43, s43
	s_cbranch_execnz .LBB7_33
.LBB7_22:                               ;   in Loop: Header=BB7_10 Depth=2
	s_or_b32 exec_lo, exec_lo, s43
	s_mov_b32 s43, exec_lo
	v_cmpx_eq_u32_e64 v1, v6
	s_cbranch_execnz .LBB7_40
.LBB7_23:                               ;   in Loop: Header=BB7_10 Depth=2
	s_or_b32 exec_lo, exec_lo, s43
	v_cmp_class_f32_e64 s43, v15, 0x1f8
	s_and_saveexec_b32 s2, s43
	s_cbranch_execz .LBB7_9
	s_branch .LBB7_41
.LBB7_24:                               ;   in Loop: Header=BB7_10 Depth=2
	s_mov_b32 s44, exec_lo
	v_cmpx_lt_i32_e64 v2, v20
	s_cbranch_execz .LBB7_32
; %bb.25:                               ;   in Loop: Header=BB7_10 Depth=2
	v_mov_b32_e32 v9, v2
	s_mov_b32 s45, 0
                                        ; implicit-def: $sgpr46
                                        ; implicit-def: $sgpr48
                                        ; implicit-def: $sgpr47
	s_inst_prefetch 0x1
	s_branch .LBB7_27
	.p2align	6
.LBB7_26:                               ;   in Loop: Header=BB7_27 Depth=3
	s_or_b32 exec_lo, exec_lo, s49
	s_and_b32 s2, exec_lo, s48
	s_or_b32 s45, s2, s45
	s_andn2_b32 s2, s46, exec_lo
	s_and_b32 s46, s47, exec_lo
	s_or_b32 s46, s2, s46
	s_andn2_b32 exec_lo, exec_lo, s45
	s_cbranch_execz .LBB7_29
.LBB7_27:                               ;   Parent Loop BB7_6 Depth=1
                                        ;     Parent Loop BB7_10 Depth=2
                                        ; =>    This Inner Loop Header: Depth=3
	v_add_nc_u32_e32 v12, v4, v9
	s_or_b32 s47, s47, exec_lo
	s_or_b32 s48, s48, exec_lo
	s_mov_b32 s49, exec_lo
	v_ashrrev_i32_e32 v13, 31, v12
	v_lshlrev_b64 v[12:13], 2, v[12:13]
	v_add_co_u32 v16, s2, s20, v12
	v_add_co_ci_u32_e64 v17, null, s21, v13, s2
	global_load_dword v16, v[16:17], off
	s_waitcnt vmcnt(0)
	v_subrev_nc_u32_e32 v16, s37, v16
	v_cmpx_ne_u32_e64 v16, v6
	s_cbranch_execz .LBB7_26
; %bb.28:                               ;   in Loop: Header=BB7_27 Depth=3
	v_add_nc_u32_e32 v9, 1, v9
	s_andn2_b32 s48, s48, exec_lo
	s_andn2_b32 s47, s47, exec_lo
	v_cmp_ge_i32_e64 s2, v9, v20
	s_and_b32 s2, s2, exec_lo
	s_or_b32 s48, s48, s2
	s_branch .LBB7_26
.LBB7_29:                               ;   in Loop: Header=BB7_10 Depth=2
	s_inst_prefetch 0x2
	s_or_b32 exec_lo, exec_lo, s45
	s_and_saveexec_b32 s2, s46
	s_xor_b32 s45, exec_lo, s2
	s_cbranch_execz .LBB7_31
; %bb.30:                               ;   in Loop: Header=BB7_10 Depth=2
	v_add_co_u32 v12, s2, s22, v12
	v_add_co_ci_u32_e64 v13, null, s23, v13, s2
	v_add_co_u32 v16, s2, s6, v10
	v_add_co_ci_u32_e64 v17, null, s7, v11, s2
	global_load_dword v9, v[12:13], off
	global_load_dword v12, v[16:17], off
	s_waitcnt vmcnt(0)
	v_fmac_f32_e32 v25, v9, v12
.LBB7_31:                               ;   in Loop: Header=BB7_10 Depth=2
	s_or_b32 exec_lo, exec_lo, s45
.LBB7_32:                               ;   in Loop: Header=BB7_10 Depth=2
	s_or_b32 exec_lo, exec_lo, s44
	s_andn2_saveexec_b32 s43, s43
	s_cbranch_execz .LBB7_22
.LBB7_33:                               ;   in Loop: Header=BB7_10 Depth=2
	v_mov_b32_e32 v9, v8
	s_mov_b32 s44, 0
                                        ; implicit-def: $sgpr45
                                        ; implicit-def: $sgpr47
                                        ; implicit-def: $sgpr46
	s_inst_prefetch 0x1
	s_branch .LBB7_35
	.p2align	6
.LBB7_34:                               ;   in Loop: Header=BB7_35 Depth=3
	s_or_b32 exec_lo, exec_lo, s48
	s_and_b32 s2, exec_lo, s47
	s_or_b32 s44, s2, s44
	s_andn2_b32 s2, s45, exec_lo
	s_and_b32 s45, s46, exec_lo
	s_or_b32 s45, s2, s45
	s_andn2_b32 exec_lo, exec_lo, s44
	s_cbranch_execz .LBB7_37
.LBB7_35:                               ;   Parent Loop BB7_6 Depth=1
                                        ;     Parent Loop BB7_10 Depth=2
                                        ; =>    This Inner Loop Header: Depth=3
	v_add_nc_u32_e32 v12, v7, v9
	s_or_b32 s46, s46, exec_lo
	s_or_b32 s47, s47, exec_lo
	s_mov_b32 s48, exec_lo
	v_ashrrev_i32_e32 v13, 31, v12
	v_lshlrev_b64 v[12:13], 2, v[12:13]
	v_add_co_u32 v16, s2, s12, v12
	v_add_co_ci_u32_e64 v17, null, s13, v13, s2
	global_load_dword v16, v[16:17], off
	s_waitcnt vmcnt(0)
	v_subrev_nc_u32_e32 v16, s38, v16
	v_cmpx_ne_u32_e64 v16, v1
	s_cbranch_execz .LBB7_34
; %bb.36:                               ;   in Loop: Header=BB7_35 Depth=3
	v_add_nc_u32_e32 v9, 1, v9
	s_andn2_b32 s47, s47, exec_lo
	s_andn2_b32 s46, s46, exec_lo
	v_cmp_ge_i32_e64 s2, v9, v26
	s_and_b32 s2, s2, exec_lo
	s_or_b32 s47, s47, s2
	s_branch .LBB7_34
.LBB7_37:                               ;   in Loop: Header=BB7_10 Depth=2
	s_inst_prefetch 0x2
	s_or_b32 exec_lo, exec_lo, s44
	s_and_saveexec_b32 s2, s45
	s_xor_b32 s44, exec_lo, s2
	s_cbranch_execz .LBB7_39
; %bb.38:                               ;   in Loop: Header=BB7_10 Depth=2
	v_add_co_u32 v12, s2, s14, v12
	v_add_co_ci_u32_e64 v13, null, s15, v13, s2
	global_load_dword v9, v[12:13], off
	s_waitcnt vmcnt(0)
	v_add_f32_e32 v25, v25, v9
.LBB7_39:                               ;   in Loop: Header=BB7_10 Depth=2
	s_or_b32 exec_lo, exec_lo, s44
	s_or_b32 exec_lo, exec_lo, s43
	s_mov_b32 s43, exec_lo
	v_cmpx_eq_u32_e64 v1, v6
	s_cbranch_execz .LBB7_23
.LBB7_40:                               ;   in Loop: Header=BB7_10 Depth=2
	v_add_co_u32 v12, s2, s6, v10
	v_add_co_ci_u32_e64 v13, null, s7, v11, s2
	global_load_dword v9, v[12:13], off
	s_waitcnt vmcnt(0)
	v_add_f32_e32 v25, v25, v9
	s_or_b32 exec_lo, exec_lo, s43
	v_cmp_class_f32_e64 s43, v15, 0x1f8
	s_and_saveexec_b32 s2, s43
	s_cbranch_execz .LBB7_9
.LBB7_41:                               ;   in Loop: Header=BB7_10 Depth=2
	s_and_saveexec_b32 s43, s1
	s_xor_b32 s43, exec_lo, s43
	s_cbranch_execz .LBB7_54
; %bb.42:                               ;   in Loop: Header=BB7_10 Depth=2
	s_mov_b32 s44, exec_lo
	v_cmpx_ge_i32_e64 v1, v6
	s_xor_b32 s44, exec_lo, s44
	s_cbranch_execz .LBB7_44
; %bb.43:                               ;   in Loop: Header=BB7_10 Depth=2
	v_add_co_u32 v6, s1, s6, v10
	v_add_co_ci_u32_e64 v7, null, s7, v11, s1
                                        ; implicit-def: $vgpr8
                                        ; implicit-def: $vgpr26
	global_store_dword v[6:7], v15, off
                                        ; implicit-def: $vgpr15
                                        ; implicit-def: $vgpr7
.LBB7_44:                               ;   in Loop: Header=BB7_10 Depth=2
	s_andn2_saveexec_b32 s1, s44
	s_cbranch_execz .LBB7_53
; %bb.45:                               ;   in Loop: Header=BB7_10 Depth=2
	s_and_saveexec_b32 s44, vcc_lo
	s_cbranch_execz .LBB7_52
; %bb.46:                               ;   in Loop: Header=BB7_10 Depth=2
	s_mov_b32 s45, 0
                                        ; implicit-def: $sgpr46
                                        ; implicit-def: $sgpr48
                                        ; implicit-def: $sgpr47
	s_inst_prefetch 0x1
	s_branch .LBB7_48
	.p2align	6
.LBB7_47:                               ;   in Loop: Header=BB7_48 Depth=3
	s_or_b32 exec_lo, exec_lo, s49
	s_and_b32 s49, exec_lo, s48
	s_or_b32 s45, s49, s45
	s_andn2_b32 s46, s46, exec_lo
	s_and_b32 s49, s47, exec_lo
	s_or_b32 s46, s46, s49
	s_andn2_b32 exec_lo, exec_lo, s45
	s_cbranch_execz .LBB7_50
.LBB7_48:                               ;   Parent Loop BB7_6 Depth=1
                                        ;     Parent Loop BB7_10 Depth=2
                                        ; =>    This Inner Loop Header: Depth=3
	v_add_nc_u32_e32 v9, v7, v8
	s_or_b32 s47, s47, exec_lo
	s_or_b32 s48, s48, exec_lo
	s_mov_b32 s49, exec_lo
	v_ashrrev_i32_e32 v10, 31, v9
	v_lshlrev_b64 v[9:10], 2, v[9:10]
	v_add_co_u32 v11, vcc_lo, s12, v9
	v_add_co_ci_u32_e64 v12, null, s13, v10, vcc_lo
	global_load_dword v2, v[11:12], off
	s_waitcnt vmcnt(0)
	v_subrev_nc_u32_e32 v2, s38, v2
	v_cmpx_ne_u32_e64 v2, v1
	s_cbranch_execz .LBB7_47
; %bb.49:                               ;   in Loop: Header=BB7_48 Depth=3
	v_add_nc_u32_e32 v8, 1, v8
	s_andn2_b32 s48, s48, exec_lo
	s_andn2_b32 s47, s47, exec_lo
	v_cmp_ge_i32_e32 vcc_lo, v8, v26
	s_and_b32 s50, vcc_lo, exec_lo
	s_or_b32 s48, s48, s50
	s_branch .LBB7_47
.LBB7_50:                               ;   in Loop: Header=BB7_10 Depth=2
	s_inst_prefetch 0x2
	s_or_b32 exec_lo, exec_lo, s45
	s_and_saveexec_b32 s45, s46
	s_xor_b32 s45, exec_lo, s45
	s_cbranch_execz .LBB7_52
; %bb.51:                               ;   in Loop: Header=BB7_10 Depth=2
	v_add_co_u32 v6, vcc_lo, s14, v9
	v_add_co_ci_u32_e64 v7, null, s15, v10, vcc_lo
	global_store_dword v[6:7], v15, off
.LBB7_52:                               ;   in Loop: Header=BB7_10 Depth=2
	s_or_b32 exec_lo, exec_lo, s44
.LBB7_53:                               ;   in Loop: Header=BB7_10 Depth=2
	s_or_b32 exec_lo, exec_lo, s1
                                        ; implicit-def: $vgpr15
                                        ; implicit-def: $vgpr6_vgpr7
.LBB7_54:                               ;   in Loop: Header=BB7_10 Depth=2
	s_andn2_saveexec_b32 s1, s43
	s_cbranch_execz .LBB7_9
; %bb.55:                               ;   in Loop: Header=BB7_10 Depth=2
	v_cmp_lt_i32_e32 vcc_lo, v2, v20
	s_and_b32 exec_lo, exec_lo, vcc_lo
	s_cbranch_execz .LBB7_9
; %bb.56:                               ;   in Loop: Header=BB7_10 Depth=2
	s_mov_b32 s1, 0
                                        ; implicit-def: $sgpr43
                                        ; implicit-def: $sgpr45
                                        ; implicit-def: $sgpr44
	s_inst_prefetch 0x1
	s_branch .LBB7_58
	.p2align	6
.LBB7_57:                               ;   in Loop: Header=BB7_58 Depth=3
	s_or_b32 exec_lo, exec_lo, s46
	s_and_b32 s46, exec_lo, s45
	s_or_b32 s1, s46, s1
	s_andn2_b32 s43, s43, exec_lo
	s_and_b32 s46, s44, exec_lo
	s_or_b32 s43, s43, s46
	s_andn2_b32 exec_lo, exec_lo, s1
	s_cbranch_execz .LBB7_60
.LBB7_58:                               ;   Parent Loop BB7_6 Depth=1
                                        ;     Parent Loop BB7_10 Depth=2
                                        ; =>    This Inner Loop Header: Depth=3
	v_add_nc_u32_e32 v7, v4, v2
	s_or_b32 s44, s44, exec_lo
	s_or_b32 s45, s45, exec_lo
	s_mov_b32 s46, exec_lo
	v_ashrrev_i32_e32 v8, 31, v7
	v_lshlrev_b64 v[7:8], 2, v[7:8]
	v_add_co_u32 v9, vcc_lo, s20, v7
	v_add_co_ci_u32_e64 v10, null, s21, v8, vcc_lo
	global_load_dword v9, v[9:10], off
	s_waitcnt vmcnt(0)
	v_subrev_nc_u32_e32 v9, s37, v9
	v_cmpx_ne_u32_e64 v9, v6
	s_cbranch_execz .LBB7_57
; %bb.59:                               ;   in Loop: Header=BB7_58 Depth=3
	v_add_nc_u32_e32 v2, 1, v2
	s_andn2_b32 s45, s45, exec_lo
	s_andn2_b32 s44, s44, exec_lo
	v_cmp_ge_i32_e32 vcc_lo, v2, v20
	s_and_b32 s47, vcc_lo, exec_lo
	s_or_b32 s45, s45, s47
	s_branch .LBB7_57
.LBB7_60:                               ;   in Loop: Header=BB7_10 Depth=2
	s_inst_prefetch 0x2
	s_or_b32 exec_lo, exec_lo, s1
	s_and_saveexec_b32 s1, s43
	s_xor_b32 s1, exec_lo, s1
	s_cbranch_execz .LBB7_9
; %bb.61:                               ;   in Loop: Header=BB7_10 Depth=2
	v_add_co_u32 v6, vcc_lo, s22, v7
	v_add_co_ci_u32_e64 v7, null, s23, v8, vcc_lo
	global_store_dword v[6:7], v15, off
	s_branch .LBB7_9
.LBB7_62:
	s_or_b32 exec_lo, exec_lo, s39
.LBB7_63:
	s_or_b32 exec_lo, exec_lo, s34
.LBB7_64:
	s_or_b32 exec_lo, exec_lo, s3
	v_lshlrev_b32_e32 v1, 2, v0
	s_mov_b32 s0, exec_lo
	ds_write_b32 v1, v18
	s_waitcnt lgkmcnt(0)
	s_waitcnt_vscnt null, 0x0
	s_barrier
	buffer_gl0_inv
	v_cmpx_gt_u32_e32 0x200, v0
	s_cbranch_execz .LBB7_66
; %bb.65:
	ds_read2st64_b32 v[2:3], v1 offset1:8
	s_waitcnt lgkmcnt(0)
	v_cmp_lt_f32_e32 vcc_lo, v2, v3
	v_cndmask_b32_e32 v2, v2, v3, vcc_lo
	ds_write_b32 v1, v2
.LBB7_66:
	s_or_b32 exec_lo, exec_lo, s0
	s_mov_b32 s0, exec_lo
	s_waitcnt lgkmcnt(0)
	s_barrier
	buffer_gl0_inv
	v_cmpx_gt_u32_e32 0x100, v0
	s_cbranch_execz .LBB7_68
; %bb.67:
	ds_read2st64_b32 v[2:3], v1 offset1:4
	s_waitcnt lgkmcnt(0)
	v_cmp_lt_f32_e32 vcc_lo, v2, v3
	v_cndmask_b32_e32 v2, v2, v3, vcc_lo
	ds_write_b32 v1, v2
.LBB7_68:
	s_or_b32 exec_lo, exec_lo, s0
	s_mov_b32 s0, exec_lo
	s_waitcnt lgkmcnt(0)
	;; [unrolled: 14-line block ×4, first 2 shown]
	s_barrier
	buffer_gl0_inv
	v_cmpx_gt_u32_e32 32, v0
	s_cbranch_execz .LBB7_74
; %bb.73:
	ds_read2_b32 v[2:3], v1 offset1:32
	s_waitcnt lgkmcnt(0)
	v_cmp_lt_f32_e32 vcc_lo, v2, v3
	v_cndmask_b32_e32 v2, v2, v3, vcc_lo
	ds_write_b32 v1, v2
.LBB7_74:
	s_or_b32 exec_lo, exec_lo, s0
	s_mov_b32 s0, exec_lo
	s_waitcnt lgkmcnt(0)
	s_barrier
	buffer_gl0_inv
	v_cmpx_gt_u32_e32 16, v0
	s_cbranch_execz .LBB7_76
; %bb.75:
	ds_read2_b32 v[2:3], v1 offset1:16
	s_waitcnt lgkmcnt(0)
	v_cmp_lt_f32_e32 vcc_lo, v2, v3
	v_cndmask_b32_e32 v2, v2, v3, vcc_lo
	ds_write_b32 v1, v2
.LBB7_76:
	s_or_b32 exec_lo, exec_lo, s0
	s_mov_b32 s0, exec_lo
	s_waitcnt lgkmcnt(0)
	;; [unrolled: 14-line block ×4, first 2 shown]
	s_barrier
	buffer_gl0_inv
	v_cmpx_gt_u32_e32 2, v0
	s_cbranch_execz .LBB7_82
; %bb.81:
	ds_read2_b32 v[2:3], v1 offset1:2
	s_waitcnt lgkmcnt(0)
	v_cmp_lt_f32_e32 vcc_lo, v2, v3
	v_cndmask_b32_e32 v2, v2, v3, vcc_lo
	ds_write_b32 v1, v2
.LBB7_82:
	s_or_b32 exec_lo, exec_lo, s0
	v_cmp_eq_u32_e32 vcc_lo, 0, v0
	s_waitcnt lgkmcnt(0)
	s_barrier
	buffer_gl0_inv
	s_and_saveexec_b32 s1, vcc_lo
	s_cbranch_execz .LBB7_84
; %bb.83:
	v_mov_b32_e32 v2, 0
	ds_read_b64 v[0:1], v2
	s_waitcnt lgkmcnt(0)
	v_cmp_lt_f32_e64 s0, v0, v1
	v_cndmask_b32_e64 v0, v0, v1, s0
	ds_write_b32 v2, v0
.LBB7_84:
	s_or_b32 exec_lo, exec_lo, s1
	s_waitcnt lgkmcnt(0)
	s_barrier
	buffer_gl0_inv
	s_and_saveexec_b32 s0, vcc_lo
	s_cbranch_execz .LBB7_88
; %bb.85:
	v_mbcnt_lo_u32_b32 v0, exec_lo, 0
	s_mov_b32 s6, 0
	v_cmp_eq_u32_e32 vcc_lo, 0, v0
	s_and_b32 exec_lo, exec_lo, vcc_lo
	s_cbranch_execz .LBB7_88
; %bb.86:
	s_load_dwordx4 s[0:3], s[4:5], 0x88
	v_mov_b32_e32 v2, 0
	ds_read_b32 v0, v2
	s_waitcnt lgkmcnt(0)
	s_load_dword s2, s[2:3], 0x0
	s_load_dword s3, s[0:1], 0x0
	s_waitcnt lgkmcnt(0)
	v_div_scale_f32 v1, null, s2, s2, v0
	v_rcp_f32_e32 v3, v1
	v_fma_f32 v4, -v1, v3, 1.0
	v_fmac_f32_e32 v3, v4, v3
	v_div_scale_f32 v4, vcc_lo, v0, s2, v0
	v_mul_f32_e32 v5, v4, v3
	v_fma_f32 v6, -v1, v5, v4
	v_fmac_f32_e32 v5, v6, v3
	v_fma_f32 v1, -v1, v5, v4
	v_div_fmas_f32 v1, v1, v3, v5
	v_div_fixup_f32 v0, v1, s2, v0
	v_mov_b32_e32 v1, s3
	v_max_f32_e32 v3, v0, v0
.LBB7_87:                               ; =>This Inner Loop Header: Depth=1
	v_max_f32_e32 v0, v1, v1
	v_max_f32_e32 v0, v0, v3
	global_atomic_cmpswap v0, v2, v[0:1], s[0:1] glc
	s_waitcnt vmcnt(0)
	v_cmp_eq_u32_e32 vcc_lo, v0, v1
	v_mov_b32_e32 v1, v0
	s_or_b32 s6, vcc_lo, s6
	s_andn2_b32 exec_lo, exec_lo, s6
	s_cbranch_execnz .LBB7_87
.LBB7_88:
	s_endpgm
	.section	.rodata,"a",@progbits
	.p2align	6, 0x0
	.amdhsa_kernel _ZN9rocsparseL17kernel_correctionILi1024ELi1EfiiEEvT3_T2_PKS2_S4_PKS1_PKT1_21rocsparse_index_base_S4_S4_S6_PS7_SA_S4_S4_S6_SB_SA_SB_PNS_15floating_traitsIS7_E6data_tEPKSE_
		.amdhsa_group_segment_fixed_size 4096
		.amdhsa_private_segment_fixed_size 0
		.amdhsa_kernarg_size 152
		.amdhsa_user_sgpr_count 6
		.amdhsa_user_sgpr_private_segment_buffer 1
		.amdhsa_user_sgpr_dispatch_ptr 0
		.amdhsa_user_sgpr_queue_ptr 0
		.amdhsa_user_sgpr_kernarg_segment_ptr 1
		.amdhsa_user_sgpr_dispatch_id 0
		.amdhsa_user_sgpr_flat_scratch_init 0
		.amdhsa_user_sgpr_private_segment_size 0
		.amdhsa_wavefront_size32 1
		.amdhsa_uses_dynamic_stack 0
		.amdhsa_system_sgpr_private_segment_wavefront_offset 0
		.amdhsa_system_sgpr_workgroup_id_x 1
		.amdhsa_system_sgpr_workgroup_id_y 0
		.amdhsa_system_sgpr_workgroup_id_z 0
		.amdhsa_system_sgpr_workgroup_info 0
		.amdhsa_system_vgpr_workitem_id 0
		.amdhsa_next_free_vgpr 35
		.amdhsa_next_free_sgpr 51
		.amdhsa_reserve_vcc 1
		.amdhsa_reserve_flat_scratch 0
		.amdhsa_float_round_mode_32 0
		.amdhsa_float_round_mode_16_64 0
		.amdhsa_float_denorm_mode_32 3
		.amdhsa_float_denorm_mode_16_64 3
		.amdhsa_dx10_clamp 1
		.amdhsa_ieee_mode 1
		.amdhsa_fp16_overflow 0
		.amdhsa_workgroup_processor_mode 1
		.amdhsa_memory_ordered 1
		.amdhsa_forward_progress 1
		.amdhsa_shared_vgpr_count 0
		.amdhsa_exception_fp_ieee_invalid_op 0
		.amdhsa_exception_fp_denorm_src 0
		.amdhsa_exception_fp_ieee_div_zero 0
		.amdhsa_exception_fp_ieee_overflow 0
		.amdhsa_exception_fp_ieee_underflow 0
		.amdhsa_exception_fp_ieee_inexact 0
		.amdhsa_exception_int_div_zero 0
	.end_amdhsa_kernel
	.section	.text._ZN9rocsparseL17kernel_correctionILi1024ELi1EfiiEEvT3_T2_PKS2_S4_PKS1_PKT1_21rocsparse_index_base_S4_S4_S6_PS7_SA_S4_S4_S6_SB_SA_SB_PNS_15floating_traitsIS7_E6data_tEPKSE_,"axG",@progbits,_ZN9rocsparseL17kernel_correctionILi1024ELi1EfiiEEvT3_T2_PKS2_S4_PKS1_PKT1_21rocsparse_index_base_S4_S4_S6_PS7_SA_S4_S4_S6_SB_SA_SB_PNS_15floating_traitsIS7_E6data_tEPKSE_,comdat
.Lfunc_end7:
	.size	_ZN9rocsparseL17kernel_correctionILi1024ELi1EfiiEEvT3_T2_PKS2_S4_PKS1_PKT1_21rocsparse_index_base_S4_S4_S6_PS7_SA_S4_S4_S6_SB_SA_SB_PNS_15floating_traitsIS7_E6data_tEPKSE_, .Lfunc_end7-_ZN9rocsparseL17kernel_correctionILi1024ELi1EfiiEEvT3_T2_PKS2_S4_PKS1_PKT1_21rocsparse_index_base_S4_S4_S6_PS7_SA_S4_S4_S6_SB_SA_SB_PNS_15floating_traitsIS7_E6data_tEPKSE_
                                        ; -- End function
	.set _ZN9rocsparseL17kernel_correctionILi1024ELi1EfiiEEvT3_T2_PKS2_S4_PKS1_PKT1_21rocsparse_index_base_S4_S4_S6_PS7_SA_S4_S4_S6_SB_SA_SB_PNS_15floating_traitsIS7_E6data_tEPKSE_.num_vgpr, 35
	.set _ZN9rocsparseL17kernel_correctionILi1024ELi1EfiiEEvT3_T2_PKS2_S4_PKS1_PKT1_21rocsparse_index_base_S4_S4_S6_PS7_SA_S4_S4_S6_SB_SA_SB_PNS_15floating_traitsIS7_E6data_tEPKSE_.num_agpr, 0
	.set _ZN9rocsparseL17kernel_correctionILi1024ELi1EfiiEEvT3_T2_PKS2_S4_PKS1_PKT1_21rocsparse_index_base_S4_S4_S6_PS7_SA_S4_S4_S6_SB_SA_SB_PNS_15floating_traitsIS7_E6data_tEPKSE_.numbered_sgpr, 51
	.set _ZN9rocsparseL17kernel_correctionILi1024ELi1EfiiEEvT3_T2_PKS2_S4_PKS1_PKT1_21rocsparse_index_base_S4_S4_S6_PS7_SA_S4_S4_S6_SB_SA_SB_PNS_15floating_traitsIS7_E6data_tEPKSE_.num_named_barrier, 0
	.set _ZN9rocsparseL17kernel_correctionILi1024ELi1EfiiEEvT3_T2_PKS2_S4_PKS1_PKT1_21rocsparse_index_base_S4_S4_S6_PS7_SA_S4_S4_S6_SB_SA_SB_PNS_15floating_traitsIS7_E6data_tEPKSE_.private_seg_size, 0
	.set _ZN9rocsparseL17kernel_correctionILi1024ELi1EfiiEEvT3_T2_PKS2_S4_PKS1_PKT1_21rocsparse_index_base_S4_S4_S6_PS7_SA_S4_S4_S6_SB_SA_SB_PNS_15floating_traitsIS7_E6data_tEPKSE_.uses_vcc, 1
	.set _ZN9rocsparseL17kernel_correctionILi1024ELi1EfiiEEvT3_T2_PKS2_S4_PKS1_PKT1_21rocsparse_index_base_S4_S4_S6_PS7_SA_S4_S4_S6_SB_SA_SB_PNS_15floating_traitsIS7_E6data_tEPKSE_.uses_flat_scratch, 0
	.set _ZN9rocsparseL17kernel_correctionILi1024ELi1EfiiEEvT3_T2_PKS2_S4_PKS1_PKT1_21rocsparse_index_base_S4_S4_S6_PS7_SA_S4_S4_S6_SB_SA_SB_PNS_15floating_traitsIS7_E6data_tEPKSE_.has_dyn_sized_stack, 0
	.set _ZN9rocsparseL17kernel_correctionILi1024ELi1EfiiEEvT3_T2_PKS2_S4_PKS1_PKT1_21rocsparse_index_base_S4_S4_S6_PS7_SA_S4_S4_S6_SB_SA_SB_PNS_15floating_traitsIS7_E6data_tEPKSE_.has_recursion, 0
	.set _ZN9rocsparseL17kernel_correctionILi1024ELi1EfiiEEvT3_T2_PKS2_S4_PKS1_PKT1_21rocsparse_index_base_S4_S4_S6_PS7_SA_S4_S4_S6_SB_SA_SB_PNS_15floating_traitsIS7_E6data_tEPKSE_.has_indirect_call, 0
	.section	.AMDGPU.csdata,"",@progbits
; Kernel info:
; codeLenInByte = 3160
; TotalNumSgprs: 53
; NumVgprs: 35
; ScratchSize: 0
; MemoryBound: 0
; FloatMode: 240
; IeeeMode: 1
; LDSByteSize: 4096 bytes/workgroup (compile time only)
; SGPRBlocks: 0
; VGPRBlocks: 4
; NumSGPRsForWavesPerEU: 53
; NumVGPRsForWavesPerEU: 35
; Occupancy: 16
; WaveLimiterHint : 1
; COMPUTE_PGM_RSRC2:SCRATCH_EN: 0
; COMPUTE_PGM_RSRC2:USER_SGPR: 6
; COMPUTE_PGM_RSRC2:TRAP_HANDLER: 0
; COMPUTE_PGM_RSRC2:TGID_X_EN: 1
; COMPUTE_PGM_RSRC2:TGID_Y_EN: 0
; COMPUTE_PGM_RSRC2:TGID_Z_EN: 0
; COMPUTE_PGM_RSRC2:TIDIG_COMP_CNT: 0
	.section	.text._ZN9rocsparseL17kernel_correctionILi1024ELi2EfiiEEvT3_T2_PKS2_S4_PKS1_PKT1_21rocsparse_index_base_S4_S4_S6_PS7_SA_S4_S4_S6_SB_SA_SB_PNS_15floating_traitsIS7_E6data_tEPKSE_,"axG",@progbits,_ZN9rocsparseL17kernel_correctionILi1024ELi2EfiiEEvT3_T2_PKS2_S4_PKS1_PKT1_21rocsparse_index_base_S4_S4_S6_PS7_SA_S4_S4_S6_SB_SA_SB_PNS_15floating_traitsIS7_E6data_tEPKSE_,comdat
	.globl	_ZN9rocsparseL17kernel_correctionILi1024ELi2EfiiEEvT3_T2_PKS2_S4_PKS1_PKT1_21rocsparse_index_base_S4_S4_S6_PS7_SA_S4_S4_S6_SB_SA_SB_PNS_15floating_traitsIS7_E6data_tEPKSE_ ; -- Begin function _ZN9rocsparseL17kernel_correctionILi1024ELi2EfiiEEvT3_T2_PKS2_S4_PKS1_PKT1_21rocsparse_index_base_S4_S4_S6_PS7_SA_S4_S4_S6_SB_SA_SB_PNS_15floating_traitsIS7_E6data_tEPKSE_
	.p2align	8
	.type	_ZN9rocsparseL17kernel_correctionILi1024ELi2EfiiEEvT3_T2_PKS2_S4_PKS1_PKT1_21rocsparse_index_base_S4_S4_S6_PS7_SA_S4_S4_S6_SB_SA_SB_PNS_15floating_traitsIS7_E6data_tEPKSE_,@function
_ZN9rocsparseL17kernel_correctionILi1024ELi2EfiiEEvT3_T2_PKS2_S4_PKS1_PKT1_21rocsparse_index_base_S4_S4_S6_PS7_SA_S4_S4_S6_SB_SA_SB_PNS_15floating_traitsIS7_E6data_tEPKSE_: ; @_ZN9rocsparseL17kernel_correctionILi1024ELi2EfiiEEvT3_T2_PKS2_S4_PKS1_PKT1_21rocsparse_index_base_S4_S4_S6_PS7_SA_S4_S4_S6_SB_SA_SB_PNS_15floating_traitsIS7_E6data_tEPKSE_
; %bb.0:
	s_load_dword s33, s[4:5], 0x0
	v_lshrrev_b32_e32 v19, 1, v0
	s_lshl_b32 s35, s6, 10
	v_and_b32_e32 v20, 1, v0
	v_mov_b32_e32 v21, 0
	s_mov_b32 s3, exec_lo
	v_or_b32_e32 v1, s35, v19
	s_waitcnt lgkmcnt(0)
	v_cmpx_gt_i32_e64 s33, v1
	s_cbranch_execz .LBB8_64
; %bb.1:
	v_mov_b32_e32 v21, 0
	s_addk_i32 s35, 0x400
	s_mov_b32 s34, exec_lo
	v_cmpx_gt_u32_e64 s35, v1
	s_cbranch_execz .LBB8_63
; %bb.2:
	s_clause 0x6
	s_load_dword s36, s[4:5], 0x28
	s_load_dwordx8 s[8:15], s[4:5], 0x58
	s_load_dwordx8 s[16:23], s[4:5], 0x30
	;; [unrolled: 1-line block ×3, first 2 shown]
	s_load_dword s37, s[4:5], 0x50
	s_load_dwordx2 s[6:7], s[4:5], 0x80
	s_load_dword s38, s[4:5], 0x78
	v_mov_b32_e32 v3, 0
	v_mov_b32_e32 v21, 0
	s_mov_b32 s39, 0
	s_waitcnt lgkmcnt(0)
	v_subrev_nc_u32_e32 v22, s36, v20
	s_branch .LBB8_6
.LBB8_3:                                ;   in Loop: Header=BB8_6 Depth=1
	s_or_b32 exec_lo, exec_lo, s42
.LBB8_4:                                ;   in Loop: Header=BB8_6 Depth=1
	s_or_b32 exec_lo, exec_lo, s41
.LBB8_5:                                ;   in Loop: Header=BB8_6 Depth=1
	s_or_b32 exec_lo, exec_lo, s40
	v_add_nc_u32_e32 v1, 0x200, v1
	v_cmp_le_u32_e32 vcc_lo, s35, v1
	s_or_b32 s39, vcc_lo, s39
	s_andn2_b32 exec_lo, exec_lo, s39
	s_cbranch_execz .LBB8_62
.LBB8_6:                                ; =>This Loop Header: Depth=1
                                        ;     Child Loop BB8_10 Depth 2
                                        ;       Child Loop BB8_14 Depth 3
                                        ;       Child Loop BB8_27 Depth 3
	;; [unrolled: 1-line block ×5, first 2 shown]
	s_mov_b32 s40, exec_lo
	v_cmpx_gt_i32_e64 s33, v1
	s_cbranch_execz .LBB8_5
; %bb.7:                                ;   in Loop: Header=BB8_6 Depth=1
	v_ashrrev_i32_e32 v2, 31, v1
	s_mov_b32 s41, exec_lo
	v_lshlrev_b64 v[5:6], 2, v[1:2]
	v_add_co_u32 v7, vcc_lo, s24, v5
	v_add_co_ci_u32_e64 v8, null, s25, v6, vcc_lo
	v_add_co_u32 v9, vcc_lo, s26, v5
	v_add_co_ci_u32_e64 v10, null, s27, v6, vcc_lo
	global_load_dword v2, v[7:8], off
	global_load_dword v7, v[9:10], off
	s_waitcnt vmcnt(1)
	v_add_nc_u32_e32 v4, v22, v2
	s_waitcnt vmcnt(0)
	v_subrev_nc_u32_e32 v23, s36, v7
	v_cmpx_lt_i32_e64 v4, v23
	s_cbranch_execz .LBB8_4
; %bb.8:                                ;   in Loop: Header=BB8_6 Depth=1
	v_add_co_u32 v7, vcc_lo, s16, v5
	v_add_co_ci_u32_e64 v8, null, s17, v6, vcc_lo
	v_add_co_u32 v5, vcc_lo, s18, v5
	v_add_co_ci_u32_e64 v6, null, s19, v6, vcc_lo
	global_load_dword v2, v[7:8], off
	s_mov_b32 s42, 0
	global_load_dword v5, v[5:6], off
	s_waitcnt vmcnt(1)
	v_subrev_nc_u32_e32 v6, s37, v2
	s_waitcnt vmcnt(0)
	v_sub_nc_u32_e32 v24, v5, v2
	v_ashrrev_i32_e32 v7, 31, v6
	v_cmp_lt_i32_e64 s0, 0, v24
	v_lshlrev_b64 v[7:8], 2, v[6:7]
	v_add_co_u32 v25, vcc_lo, s20, v7
	v_add_co_ci_u32_e64 v26, null, s21, v8, vcc_lo
	v_add_co_u32 v27, vcc_lo, s22, v7
	v_add_co_ci_u32_e64 v28, null, s23, v8, vcc_lo
	s_branch .LBB8_10
.LBB8_9:                                ;   in Loop: Header=BB8_10 Depth=2
	s_or_b32 exec_lo, exec_lo, s2
	v_sub_f32_e32 v2, v15, v5
	v_add_nc_u32_e32 v4, 2, v4
	v_cmp_nlg_f32_e64 s1, 0x7f800000, |v2|
	v_cmp_gt_f32_e64 s2, v21, |v2|
	v_cmp_ge_i32_e32 vcc_lo, v4, v23
	s_or_b32 s1, s1, s2
	s_or_b32 s42, vcc_lo, s42
	v_cndmask_b32_e64 v21, |v2|, v21, s1
	s_andn2_b32 exec_lo, exec_lo, s42
	s_cbranch_execz .LBB8_3
.LBB8_10:                               ;   Parent Loop BB8_6 Depth=1
                                        ; =>  This Loop Header: Depth=2
                                        ;       Child Loop BB8_14 Depth 3
                                        ;       Child Loop BB8_27 Depth 3
                                        ;       Child Loop BB8_35 Depth 3
                                        ;       Child Loop BB8_48 Depth 3
                                        ;       Child Loop BB8_58 Depth 3
	v_ashrrev_i32_e32 v5, 31, v4
	v_lshlrev_b64 v[13:14], 2, v[4:5]
	v_mov_b32_e32 v5, 0
	v_add_co_u32 v7, vcc_lo, s28, v13
	v_add_co_ci_u32_e64 v8, null, s29, v14, vcc_lo
	global_load_dword v2, v[7:8], off
	s_waitcnt vmcnt(0)
	v_subrev_nc_u32_e32 v7, s36, v2
	v_ashrrev_i32_e32 v8, 31, v7
	v_lshlrev_b64 v[11:12], 2, v[7:8]
	v_add_co_u32 v8, vcc_lo, s8, v11
	v_add_co_ci_u32_e64 v9, null, s9, v12, vcc_lo
	v_add_co_u32 v15, vcc_lo, s10, v11
	v_add_co_ci_u32_e64 v16, null, s11, v12, vcc_lo
	global_load_dword v2, v[8:9], off
	global_load_dword v10, v[15:16], off
	v_mov_b32_e32 v9, 0
	s_waitcnt vmcnt(1)
	v_subrev_nc_u32_e32 v8, s38, v2
	s_waitcnt vmcnt(0)
	v_sub_nc_u32_e32 v29, v10, v2
	v_mov_b32_e32 v2, v9
	s_and_saveexec_b32 s2, s0
	s_cbranch_execz .LBB8_18
; %bb.11:                               ;   in Loop: Header=BB8_10 Depth=2
	v_ashrrev_i32_e32 v9, 31, v8
	v_mov_b32_e32 v5, 0
	v_mov_b32_e32 v2, 0
	s_mov_b32 s43, 0
                                        ; implicit-def: $sgpr44
	v_lshlrev_b64 v[9:10], 2, v[8:9]
	v_add_co_u32 v30, vcc_lo, s12, v9
	v_add_co_ci_u32_e64 v31, null, s13, v10, vcc_lo
	v_add_co_u32 v32, vcc_lo, s14, v9
	v_add_co_ci_u32_e64 v33, null, s15, v10, vcc_lo
	v_mov_b32_e32 v9, 0
	s_branch .LBB8_14
.LBB8_12:                               ;   in Loop: Header=BB8_14 Depth=3
	s_or_b32 exec_lo, exec_lo, s1
	v_cmp_le_i32_e32 vcc_lo, v10, v34
	v_cmp_ge_i32_e64 s1, v10, v34
	v_add_co_ci_u32_e64 v2, null, 0, v2, vcc_lo
	v_add_co_ci_u32_e64 v9, null, 0, v9, s1
	s_andn2_b32 s1, s44, exec_lo
	v_cmp_ge_i32_e32 vcc_lo, v2, v24
	s_and_b32 s44, vcc_lo, exec_lo
	s_or_b32 s44, s1, s44
.LBB8_13:                               ;   in Loop: Header=BB8_14 Depth=3
	s_or_b32 exec_lo, exec_lo, s45
	s_and_b32 s1, exec_lo, s44
	s_or_b32 s43, s1, s43
	s_andn2_b32 exec_lo, exec_lo, s43
	s_cbranch_execz .LBB8_17
.LBB8_14:                               ;   Parent Loop BB8_6 Depth=1
                                        ;     Parent Loop BB8_10 Depth=2
                                        ; =>    This Inner Loop Header: Depth=3
	s_or_b32 s44, s44, exec_lo
	s_mov_b32 s45, exec_lo
	v_cmpx_lt_i32_e64 v9, v29
	s_cbranch_execz .LBB8_13
; %bb.15:                               ;   in Loop: Header=BB8_14 Depth=3
	v_mov_b32_e32 v10, v3
	v_lshlrev_b64 v[17:18], 2, v[2:3]
	s_mov_b32 s1, exec_lo
	v_lshlrev_b64 v[15:16], 2, v[9:10]
	v_add_co_u32 v34, vcc_lo, v25, v17
	v_add_co_ci_u32_e64 v35, null, v26, v18, vcc_lo
	v_add_co_u32 v36, vcc_lo, v30, v15
	v_add_co_ci_u32_e64 v37, null, v31, v16, vcc_lo
	global_load_dword v10, v[34:35], off
	global_load_dword v34, v[36:37], off
	s_waitcnt vmcnt(1)
	v_subrev_nc_u32_e32 v10, s37, v10
	s_waitcnt vmcnt(0)
	v_subrev_nc_u32_e32 v34, s38, v34
	v_cmpx_eq_u32_e64 v10, v34
	s_cbranch_execz .LBB8_12
; %bb.16:                               ;   in Loop: Header=BB8_14 Depth=3
	v_add_co_u32 v17, vcc_lo, v27, v17
	v_add_co_ci_u32_e64 v18, null, v28, v18, vcc_lo
	v_add_co_u32 v15, vcc_lo, v32, v15
	v_add_co_ci_u32_e64 v16, null, v33, v16, vcc_lo
	global_load_dword v17, v[17:18], off
	global_load_dword v15, v[15:16], off
	s_waitcnt vmcnt(0)
	v_fmac_f32_e32 v5, v17, v15
	s_branch .LBB8_12
.LBB8_17:                               ;   in Loop: Header=BB8_10 Depth=2
	s_or_b32 exec_lo, exec_lo, s43
.LBB8_18:                               ;   in Loop: Header=BB8_10 Depth=2
	s_or_b32 exec_lo, exec_lo, s2
	v_add_co_u32 v13, vcc_lo, s30, v13
	v_add_co_ci_u32_e64 v14, null, s31, v14, vcc_lo
	v_cmp_le_i32_e64 s1, v1, v7
	s_mov_b32 s2, exec_lo
	global_load_dword v15, v[13:14], off
	s_waitcnt vmcnt(0)
	v_sub_f32_e32 v16, v15, v5
	v_cmpx_gt_i32_e64 v1, v7
	s_cbranch_execz .LBB8_20
; %bb.19:                               ;   in Loop: Header=BB8_10 Depth=2
	v_add_co_u32 v13, vcc_lo, s6, v11
	v_add_co_ci_u32_e64 v14, null, s7, v12, vcc_lo
	global_load_dword v10, v[13:14], off
	s_waitcnt vmcnt(0)
	v_div_scale_f32 v13, null, v10, v10, v16
	v_rcp_f32_e32 v14, v13
	v_fma_f32 v17, -v13, v14, 1.0
	v_fmac_f32_e32 v14, v17, v14
	v_div_scale_f32 v17, vcc_lo, v16, v10, v16
	v_mul_f32_e32 v18, v17, v14
	v_fma_f32 v30, -v13, v18, v17
	v_fmac_f32_e32 v18, v30, v14
	v_fma_f32 v13, -v13, v18, v17
	v_div_fmas_f32 v13, v13, v14, v18
	v_div_fixup_f32 v16, v13, v10, v16
.LBB8_20:                               ;   in Loop: Header=BB8_10 Depth=2
	s_or_b32 exec_lo, exec_lo, s2
	s_mov_b32 s43, exec_lo
	v_cmp_lt_i32_e32 vcc_lo, v9, v29
	v_cmpx_ge_i32_e64 v9, v29
	s_xor_b32 s43, exec_lo, s43
	s_cbranch_execnz .LBB8_24
; %bb.21:                               ;   in Loop: Header=BB8_10 Depth=2
	s_andn2_saveexec_b32 s43, s43
	s_cbranch_execnz .LBB8_33
.LBB8_22:                               ;   in Loop: Header=BB8_10 Depth=2
	s_or_b32 exec_lo, exec_lo, s43
	s_mov_b32 s43, exec_lo
	v_cmpx_eq_u32_e64 v1, v7
	s_cbranch_execnz .LBB8_40
.LBB8_23:                               ;   in Loop: Header=BB8_10 Depth=2
	s_or_b32 exec_lo, exec_lo, s43
	v_cmp_class_f32_e64 s43, v16, 0x1f8
	s_and_saveexec_b32 s2, s43
	s_cbranch_execz .LBB8_9
	s_branch .LBB8_41
.LBB8_24:                               ;   in Loop: Header=BB8_10 Depth=2
	s_mov_b32 s44, exec_lo
	v_cmpx_lt_i32_e64 v2, v24
	s_cbranch_execz .LBB8_32
; %bb.25:                               ;   in Loop: Header=BB8_10 Depth=2
	v_mov_b32_e32 v10, v2
	s_mov_b32 s45, 0
                                        ; implicit-def: $sgpr46
                                        ; implicit-def: $sgpr48
                                        ; implicit-def: $sgpr47
	s_inst_prefetch 0x1
	s_branch .LBB8_27
	.p2align	6
.LBB8_26:                               ;   in Loop: Header=BB8_27 Depth=3
	s_or_b32 exec_lo, exec_lo, s49
	s_and_b32 s2, exec_lo, s48
	s_or_b32 s45, s2, s45
	s_andn2_b32 s2, s46, exec_lo
	s_and_b32 s46, s47, exec_lo
	s_or_b32 s46, s2, s46
	s_andn2_b32 exec_lo, exec_lo, s45
	s_cbranch_execz .LBB8_29
.LBB8_27:                               ;   Parent Loop BB8_6 Depth=1
                                        ;     Parent Loop BB8_10 Depth=2
                                        ; =>    This Inner Loop Header: Depth=3
	v_add_nc_u32_e32 v13, v6, v10
	s_or_b32 s47, s47, exec_lo
	s_or_b32 s48, s48, exec_lo
	s_mov_b32 s49, exec_lo
	v_ashrrev_i32_e32 v14, 31, v13
	v_lshlrev_b64 v[13:14], 2, v[13:14]
	v_add_co_u32 v17, s2, s20, v13
	v_add_co_ci_u32_e64 v18, null, s21, v14, s2
	global_load_dword v17, v[17:18], off
	s_waitcnt vmcnt(0)
	v_subrev_nc_u32_e32 v17, s37, v17
	v_cmpx_ne_u32_e64 v17, v7
	s_cbranch_execz .LBB8_26
; %bb.28:                               ;   in Loop: Header=BB8_27 Depth=3
	v_add_nc_u32_e32 v10, 1, v10
	s_andn2_b32 s48, s48, exec_lo
	s_andn2_b32 s47, s47, exec_lo
	v_cmp_ge_i32_e64 s2, v10, v24
	s_and_b32 s2, s2, exec_lo
	s_or_b32 s48, s48, s2
	s_branch .LBB8_26
.LBB8_29:                               ;   in Loop: Header=BB8_10 Depth=2
	s_inst_prefetch 0x2
	s_or_b32 exec_lo, exec_lo, s45
	s_and_saveexec_b32 s2, s46
	s_xor_b32 s45, exec_lo, s2
	s_cbranch_execz .LBB8_31
; %bb.30:                               ;   in Loop: Header=BB8_10 Depth=2
	v_add_co_u32 v13, s2, s22, v13
	v_add_co_ci_u32_e64 v14, null, s23, v14, s2
	v_add_co_u32 v17, s2, s6, v11
	v_add_co_ci_u32_e64 v18, null, s7, v12, s2
	global_load_dword v10, v[13:14], off
	global_load_dword v13, v[17:18], off
	s_waitcnt vmcnt(0)
	v_fmac_f32_e32 v5, v10, v13
.LBB8_31:                               ;   in Loop: Header=BB8_10 Depth=2
	s_or_b32 exec_lo, exec_lo, s45
.LBB8_32:                               ;   in Loop: Header=BB8_10 Depth=2
	s_or_b32 exec_lo, exec_lo, s44
	s_andn2_saveexec_b32 s43, s43
	s_cbranch_execz .LBB8_22
.LBB8_33:                               ;   in Loop: Header=BB8_10 Depth=2
	v_mov_b32_e32 v10, v9
	s_mov_b32 s44, 0
                                        ; implicit-def: $sgpr45
                                        ; implicit-def: $sgpr47
                                        ; implicit-def: $sgpr46
	s_inst_prefetch 0x1
	s_branch .LBB8_35
	.p2align	6
.LBB8_34:                               ;   in Loop: Header=BB8_35 Depth=3
	s_or_b32 exec_lo, exec_lo, s48
	s_and_b32 s2, exec_lo, s47
	s_or_b32 s44, s2, s44
	s_andn2_b32 s2, s45, exec_lo
	s_and_b32 s45, s46, exec_lo
	s_or_b32 s45, s2, s45
	s_andn2_b32 exec_lo, exec_lo, s44
	s_cbranch_execz .LBB8_37
.LBB8_35:                               ;   Parent Loop BB8_6 Depth=1
                                        ;     Parent Loop BB8_10 Depth=2
                                        ; =>    This Inner Loop Header: Depth=3
	v_add_nc_u32_e32 v13, v8, v10
	s_or_b32 s46, s46, exec_lo
	s_or_b32 s47, s47, exec_lo
	s_mov_b32 s48, exec_lo
	v_ashrrev_i32_e32 v14, 31, v13
	v_lshlrev_b64 v[13:14], 2, v[13:14]
	v_add_co_u32 v17, s2, s12, v13
	v_add_co_ci_u32_e64 v18, null, s13, v14, s2
	global_load_dword v17, v[17:18], off
	s_waitcnt vmcnt(0)
	v_subrev_nc_u32_e32 v17, s38, v17
	v_cmpx_ne_u32_e64 v17, v1
	s_cbranch_execz .LBB8_34
; %bb.36:                               ;   in Loop: Header=BB8_35 Depth=3
	v_add_nc_u32_e32 v10, 1, v10
	s_andn2_b32 s47, s47, exec_lo
	s_andn2_b32 s46, s46, exec_lo
	v_cmp_ge_i32_e64 s2, v10, v29
	s_and_b32 s2, s2, exec_lo
	s_or_b32 s47, s47, s2
	s_branch .LBB8_34
.LBB8_37:                               ;   in Loop: Header=BB8_10 Depth=2
	s_inst_prefetch 0x2
	s_or_b32 exec_lo, exec_lo, s44
	s_and_saveexec_b32 s2, s45
	s_xor_b32 s44, exec_lo, s2
	s_cbranch_execz .LBB8_39
; %bb.38:                               ;   in Loop: Header=BB8_10 Depth=2
	v_add_co_u32 v13, s2, s14, v13
	v_add_co_ci_u32_e64 v14, null, s15, v14, s2
	global_load_dword v10, v[13:14], off
	s_waitcnt vmcnt(0)
	v_add_f32_e32 v5, v5, v10
.LBB8_39:                               ;   in Loop: Header=BB8_10 Depth=2
	s_or_b32 exec_lo, exec_lo, s44
	s_or_b32 exec_lo, exec_lo, s43
	s_mov_b32 s43, exec_lo
	v_cmpx_eq_u32_e64 v1, v7
	s_cbranch_execz .LBB8_23
.LBB8_40:                               ;   in Loop: Header=BB8_10 Depth=2
	v_add_co_u32 v13, s2, s6, v11
	v_add_co_ci_u32_e64 v14, null, s7, v12, s2
	global_load_dword v10, v[13:14], off
	s_waitcnt vmcnt(0)
	v_add_f32_e32 v5, v5, v10
	s_or_b32 exec_lo, exec_lo, s43
	v_cmp_class_f32_e64 s43, v16, 0x1f8
	s_and_saveexec_b32 s2, s43
	s_cbranch_execz .LBB8_9
.LBB8_41:                               ;   in Loop: Header=BB8_10 Depth=2
	s_and_saveexec_b32 s43, s1
	s_xor_b32 s43, exec_lo, s43
	s_cbranch_execz .LBB8_54
; %bb.42:                               ;   in Loop: Header=BB8_10 Depth=2
	s_mov_b32 s44, exec_lo
	v_cmpx_ge_i32_e64 v1, v7
	s_xor_b32 s44, exec_lo, s44
	s_cbranch_execz .LBB8_44
; %bb.43:                               ;   in Loop: Header=BB8_10 Depth=2
	v_add_co_u32 v7, s1, s6, v11
	v_add_co_ci_u32_e64 v8, null, s7, v12, s1
                                        ; implicit-def: $vgpr9
                                        ; implicit-def: $vgpr29
	global_store_dword v[7:8], v16, off
                                        ; implicit-def: $vgpr16
                                        ; implicit-def: $vgpr8
.LBB8_44:                               ;   in Loop: Header=BB8_10 Depth=2
	s_andn2_saveexec_b32 s1, s44
	s_cbranch_execz .LBB8_53
; %bb.45:                               ;   in Loop: Header=BB8_10 Depth=2
	s_and_saveexec_b32 s44, vcc_lo
	s_cbranch_execz .LBB8_52
; %bb.46:                               ;   in Loop: Header=BB8_10 Depth=2
	s_mov_b32 s45, 0
                                        ; implicit-def: $sgpr46
                                        ; implicit-def: $sgpr48
                                        ; implicit-def: $sgpr47
	s_inst_prefetch 0x1
	s_branch .LBB8_48
	.p2align	6
.LBB8_47:                               ;   in Loop: Header=BB8_48 Depth=3
	s_or_b32 exec_lo, exec_lo, s49
	s_and_b32 s49, exec_lo, s48
	s_or_b32 s45, s49, s45
	s_andn2_b32 s46, s46, exec_lo
	s_and_b32 s49, s47, exec_lo
	s_or_b32 s46, s46, s49
	s_andn2_b32 exec_lo, exec_lo, s45
	s_cbranch_execz .LBB8_50
.LBB8_48:                               ;   Parent Loop BB8_6 Depth=1
                                        ;     Parent Loop BB8_10 Depth=2
                                        ; =>    This Inner Loop Header: Depth=3
	v_add_nc_u32_e32 v10, v8, v9
	s_or_b32 s47, s47, exec_lo
	s_or_b32 s48, s48, exec_lo
	s_mov_b32 s49, exec_lo
	v_ashrrev_i32_e32 v11, 31, v10
	v_lshlrev_b64 v[10:11], 2, v[10:11]
	v_add_co_u32 v12, vcc_lo, s12, v10
	v_add_co_ci_u32_e64 v13, null, s13, v11, vcc_lo
	global_load_dword v2, v[12:13], off
	s_waitcnt vmcnt(0)
	v_subrev_nc_u32_e32 v2, s38, v2
	v_cmpx_ne_u32_e64 v2, v1
	s_cbranch_execz .LBB8_47
; %bb.49:                               ;   in Loop: Header=BB8_48 Depth=3
	v_add_nc_u32_e32 v9, 1, v9
	s_andn2_b32 s48, s48, exec_lo
	s_andn2_b32 s47, s47, exec_lo
	v_cmp_ge_i32_e32 vcc_lo, v9, v29
	s_and_b32 s50, vcc_lo, exec_lo
	s_or_b32 s48, s48, s50
	s_branch .LBB8_47
.LBB8_50:                               ;   in Loop: Header=BB8_10 Depth=2
	s_inst_prefetch 0x2
	s_or_b32 exec_lo, exec_lo, s45
	s_and_saveexec_b32 s45, s46
	s_xor_b32 s45, exec_lo, s45
	s_cbranch_execz .LBB8_52
; %bb.51:                               ;   in Loop: Header=BB8_10 Depth=2
	v_add_co_u32 v7, vcc_lo, s14, v10
	v_add_co_ci_u32_e64 v8, null, s15, v11, vcc_lo
	global_store_dword v[7:8], v16, off
.LBB8_52:                               ;   in Loop: Header=BB8_10 Depth=2
	s_or_b32 exec_lo, exec_lo, s44
.LBB8_53:                               ;   in Loop: Header=BB8_10 Depth=2
	s_or_b32 exec_lo, exec_lo, s1
                                        ; implicit-def: $vgpr16
                                        ; implicit-def: $vgpr7_vgpr8
.LBB8_54:                               ;   in Loop: Header=BB8_10 Depth=2
	s_andn2_saveexec_b32 s1, s43
	s_cbranch_execz .LBB8_9
; %bb.55:                               ;   in Loop: Header=BB8_10 Depth=2
	v_cmp_lt_i32_e32 vcc_lo, v2, v24
	s_and_b32 exec_lo, exec_lo, vcc_lo
	s_cbranch_execz .LBB8_9
; %bb.56:                               ;   in Loop: Header=BB8_10 Depth=2
	s_mov_b32 s1, 0
                                        ; implicit-def: $sgpr43
                                        ; implicit-def: $sgpr45
                                        ; implicit-def: $sgpr44
	s_inst_prefetch 0x1
	s_branch .LBB8_58
	.p2align	6
.LBB8_57:                               ;   in Loop: Header=BB8_58 Depth=3
	s_or_b32 exec_lo, exec_lo, s46
	s_and_b32 s46, exec_lo, s45
	s_or_b32 s1, s46, s1
	s_andn2_b32 s43, s43, exec_lo
	s_and_b32 s46, s44, exec_lo
	s_or_b32 s43, s43, s46
	s_andn2_b32 exec_lo, exec_lo, s1
	s_cbranch_execz .LBB8_60
.LBB8_58:                               ;   Parent Loop BB8_6 Depth=1
                                        ;     Parent Loop BB8_10 Depth=2
                                        ; =>    This Inner Loop Header: Depth=3
	v_add_nc_u32_e32 v8, v6, v2
	s_or_b32 s44, s44, exec_lo
	s_or_b32 s45, s45, exec_lo
	s_mov_b32 s46, exec_lo
	v_ashrrev_i32_e32 v9, 31, v8
	v_lshlrev_b64 v[8:9], 2, v[8:9]
	v_add_co_u32 v10, vcc_lo, s20, v8
	v_add_co_ci_u32_e64 v11, null, s21, v9, vcc_lo
	global_load_dword v10, v[10:11], off
	s_waitcnt vmcnt(0)
	v_subrev_nc_u32_e32 v10, s37, v10
	v_cmpx_ne_u32_e64 v10, v7
	s_cbranch_execz .LBB8_57
; %bb.59:                               ;   in Loop: Header=BB8_58 Depth=3
	v_add_nc_u32_e32 v2, 1, v2
	s_andn2_b32 s45, s45, exec_lo
	s_andn2_b32 s44, s44, exec_lo
	v_cmp_ge_i32_e32 vcc_lo, v2, v24
	s_and_b32 s47, vcc_lo, exec_lo
	s_or_b32 s45, s45, s47
	s_branch .LBB8_57
.LBB8_60:                               ;   in Loop: Header=BB8_10 Depth=2
	s_inst_prefetch 0x2
	s_or_b32 exec_lo, exec_lo, s1
	s_and_saveexec_b32 s1, s43
	s_xor_b32 s1, exec_lo, s1
	s_cbranch_execz .LBB8_9
; %bb.61:                               ;   in Loop: Header=BB8_10 Depth=2
	v_add_co_u32 v7, vcc_lo, s22, v8
	v_add_co_ci_u32_e64 v8, null, s23, v9, vcc_lo
	global_store_dword v[7:8], v16, off
	s_branch .LBB8_9
.LBB8_62:
	s_or_b32 exec_lo, exec_lo, s39
.LBB8_63:
	s_or_b32 exec_lo, exec_lo, s34
.LBB8_64:
	s_or_b32 exec_lo, exec_lo, s3
	v_mbcnt_lo_u32_b32 v1, -1, 0
	s_mov_b32 s0, exec_lo
	v_xor_b32_e32 v2, 1, v1
	v_cmp_gt_i32_e32 vcc_lo, 32, v2
	v_cndmask_b32_e32 v1, v1, v2, vcc_lo
	v_lshlrev_b32_e32 v1, 2, v1
	ds_bpermute_b32 v1, v1, v21
	v_cmpx_ne_u32_e32 0, v20
	s_cbranch_execz .LBB8_66
; %bb.65:
	s_waitcnt lgkmcnt(0)
	v_cmp_lt_f32_e32 vcc_lo, v21, v1
	v_lshlrev_b32_e32 v2, 2, v19
	v_cndmask_b32_e32 v1, v21, v1, vcc_lo
	ds_write_b32 v2, v1
.LBB8_66:
	s_or_b32 exec_lo, exec_lo, s0
	s_waitcnt lgkmcnt(0)
	v_lshlrev_b32_e32 v1, 2, v0
	s_mov_b32 s0, exec_lo
	s_waitcnt_vscnt null, 0x0
	s_barrier
	buffer_gl0_inv
	v_cmpx_gt_u32_e32 0x100, v0
	s_cbranch_execz .LBB8_68
; %bb.67:
	ds_read2st64_b32 v[2:3], v1 offset1:4
	s_waitcnt lgkmcnt(0)
	v_cmp_lt_f32_e32 vcc_lo, v2, v3
	v_cndmask_b32_e32 v2, v2, v3, vcc_lo
	ds_write_b32 v1, v2
.LBB8_68:
	s_or_b32 exec_lo, exec_lo, s0
	s_mov_b32 s0, exec_lo
	s_waitcnt lgkmcnt(0)
	s_barrier
	buffer_gl0_inv
	v_cmpx_gt_u32_e32 0x80, v0
	s_cbranch_execz .LBB8_70
; %bb.69:
	ds_read2st64_b32 v[2:3], v1 offset1:2
	s_waitcnt lgkmcnt(0)
	v_cmp_lt_f32_e32 vcc_lo, v2, v3
	v_cndmask_b32_e32 v2, v2, v3, vcc_lo
	ds_write_b32 v1, v2
.LBB8_70:
	s_or_b32 exec_lo, exec_lo, s0
	s_mov_b32 s0, exec_lo
	s_waitcnt lgkmcnt(0)
	;; [unrolled: 14-line block ×3, first 2 shown]
	s_barrier
	buffer_gl0_inv
	v_cmpx_gt_u32_e32 32, v0
	s_cbranch_execz .LBB8_74
; %bb.73:
	ds_read2_b32 v[2:3], v1 offset1:32
	s_waitcnt lgkmcnt(0)
	v_cmp_lt_f32_e32 vcc_lo, v2, v3
	v_cndmask_b32_e32 v2, v2, v3, vcc_lo
	ds_write_b32 v1, v2
.LBB8_74:
	s_or_b32 exec_lo, exec_lo, s0
	s_mov_b32 s0, exec_lo
	s_waitcnt lgkmcnt(0)
	s_barrier
	buffer_gl0_inv
	v_cmpx_gt_u32_e32 16, v0
	s_cbranch_execz .LBB8_76
; %bb.75:
	ds_read2_b32 v[2:3], v1 offset1:16
	s_waitcnt lgkmcnt(0)
	v_cmp_lt_f32_e32 vcc_lo, v2, v3
	v_cndmask_b32_e32 v2, v2, v3, vcc_lo
	ds_write_b32 v1, v2
.LBB8_76:
	s_or_b32 exec_lo, exec_lo, s0
	s_mov_b32 s0, exec_lo
	s_waitcnt lgkmcnt(0)
	;; [unrolled: 14-line block ×4, first 2 shown]
	s_barrier
	buffer_gl0_inv
	v_cmpx_gt_u32_e32 2, v0
	s_cbranch_execz .LBB8_82
; %bb.81:
	ds_read2_b32 v[2:3], v1 offset1:2
	s_waitcnt lgkmcnt(0)
	v_cmp_lt_f32_e32 vcc_lo, v2, v3
	v_cndmask_b32_e32 v2, v2, v3, vcc_lo
	ds_write_b32 v1, v2
.LBB8_82:
	s_or_b32 exec_lo, exec_lo, s0
	v_cmp_eq_u32_e32 vcc_lo, 0, v0
	s_waitcnt lgkmcnt(0)
	s_barrier
	buffer_gl0_inv
	s_and_saveexec_b32 s1, vcc_lo
	s_cbranch_execz .LBB8_84
; %bb.83:
	v_mov_b32_e32 v2, 0
	ds_read_b64 v[0:1], v2
	s_waitcnt lgkmcnt(0)
	v_cmp_lt_f32_e64 s0, v0, v1
	v_cndmask_b32_e64 v0, v0, v1, s0
	ds_write_b32 v2, v0
.LBB8_84:
	s_or_b32 exec_lo, exec_lo, s1
	s_waitcnt lgkmcnt(0)
	s_barrier
	buffer_gl0_inv
	s_and_saveexec_b32 s0, vcc_lo
	s_cbranch_execz .LBB8_88
; %bb.85:
	v_mbcnt_lo_u32_b32 v0, exec_lo, 0
	s_mov_b32 s6, 0
	v_cmp_eq_u32_e32 vcc_lo, 0, v0
	s_and_b32 exec_lo, exec_lo, vcc_lo
	s_cbranch_execz .LBB8_88
; %bb.86:
	s_load_dwordx4 s[0:3], s[4:5], 0x88
	v_mov_b32_e32 v2, 0
	ds_read_b32 v0, v2
	s_waitcnt lgkmcnt(0)
	s_load_dword s2, s[2:3], 0x0
	s_load_dword s3, s[0:1], 0x0
	s_waitcnt lgkmcnt(0)
	v_div_scale_f32 v1, null, s2, s2, v0
	v_rcp_f32_e32 v3, v1
	v_fma_f32 v4, -v1, v3, 1.0
	v_fmac_f32_e32 v3, v4, v3
	v_div_scale_f32 v4, vcc_lo, v0, s2, v0
	v_mul_f32_e32 v5, v4, v3
	v_fma_f32 v6, -v1, v5, v4
	v_fmac_f32_e32 v5, v6, v3
	v_fma_f32 v1, -v1, v5, v4
	v_div_fmas_f32 v1, v1, v3, v5
	v_div_fixup_f32 v0, v1, s2, v0
	v_mov_b32_e32 v1, s3
	v_max_f32_e32 v3, v0, v0
.LBB8_87:                               ; =>This Inner Loop Header: Depth=1
	v_max_f32_e32 v0, v1, v1
	v_max_f32_e32 v0, v0, v3
	global_atomic_cmpswap v0, v2, v[0:1], s[0:1] glc
	s_waitcnt vmcnt(0)
	v_cmp_eq_u32_e32 vcc_lo, v0, v1
	v_mov_b32_e32 v1, v0
	s_or_b32 s6, vcc_lo, s6
	s_andn2_b32 exec_lo, exec_lo, s6
	s_cbranch_execnz .LBB8_87
.LBB8_88:
	s_endpgm
	.section	.rodata,"a",@progbits
	.p2align	6, 0x0
	.amdhsa_kernel _ZN9rocsparseL17kernel_correctionILi1024ELi2EfiiEEvT3_T2_PKS2_S4_PKS1_PKT1_21rocsparse_index_base_S4_S4_S6_PS7_SA_S4_S4_S6_SB_SA_SB_PNS_15floating_traitsIS7_E6data_tEPKSE_
		.amdhsa_group_segment_fixed_size 2048
		.amdhsa_private_segment_fixed_size 0
		.amdhsa_kernarg_size 152
		.amdhsa_user_sgpr_count 6
		.amdhsa_user_sgpr_private_segment_buffer 1
		.amdhsa_user_sgpr_dispatch_ptr 0
		.amdhsa_user_sgpr_queue_ptr 0
		.amdhsa_user_sgpr_kernarg_segment_ptr 1
		.amdhsa_user_sgpr_dispatch_id 0
		.amdhsa_user_sgpr_flat_scratch_init 0
		.amdhsa_user_sgpr_private_segment_size 0
		.amdhsa_wavefront_size32 1
		.amdhsa_uses_dynamic_stack 0
		.amdhsa_system_sgpr_private_segment_wavefront_offset 0
		.amdhsa_system_sgpr_workgroup_id_x 1
		.amdhsa_system_sgpr_workgroup_id_y 0
		.amdhsa_system_sgpr_workgroup_id_z 0
		.amdhsa_system_sgpr_workgroup_info 0
		.amdhsa_system_vgpr_workitem_id 0
		.amdhsa_next_free_vgpr 38
		.amdhsa_next_free_sgpr 51
		.amdhsa_reserve_vcc 1
		.amdhsa_reserve_flat_scratch 0
		.amdhsa_float_round_mode_32 0
		.amdhsa_float_round_mode_16_64 0
		.amdhsa_float_denorm_mode_32 3
		.amdhsa_float_denorm_mode_16_64 3
		.amdhsa_dx10_clamp 1
		.amdhsa_ieee_mode 1
		.amdhsa_fp16_overflow 0
		.amdhsa_workgroup_processor_mode 1
		.amdhsa_memory_ordered 1
		.amdhsa_forward_progress 1
		.amdhsa_shared_vgpr_count 0
		.amdhsa_exception_fp_ieee_invalid_op 0
		.amdhsa_exception_fp_denorm_src 0
		.amdhsa_exception_fp_ieee_div_zero 0
		.amdhsa_exception_fp_ieee_overflow 0
		.amdhsa_exception_fp_ieee_underflow 0
		.amdhsa_exception_fp_ieee_inexact 0
		.amdhsa_exception_int_div_zero 0
	.end_amdhsa_kernel
	.section	.text._ZN9rocsparseL17kernel_correctionILi1024ELi2EfiiEEvT3_T2_PKS2_S4_PKS1_PKT1_21rocsparse_index_base_S4_S4_S6_PS7_SA_S4_S4_S6_SB_SA_SB_PNS_15floating_traitsIS7_E6data_tEPKSE_,"axG",@progbits,_ZN9rocsparseL17kernel_correctionILi1024ELi2EfiiEEvT3_T2_PKS2_S4_PKS1_PKT1_21rocsparse_index_base_S4_S4_S6_PS7_SA_S4_S4_S6_SB_SA_SB_PNS_15floating_traitsIS7_E6data_tEPKSE_,comdat
.Lfunc_end8:
	.size	_ZN9rocsparseL17kernel_correctionILi1024ELi2EfiiEEvT3_T2_PKS2_S4_PKS1_PKT1_21rocsparse_index_base_S4_S4_S6_PS7_SA_S4_S4_S6_SB_SA_SB_PNS_15floating_traitsIS7_E6data_tEPKSE_, .Lfunc_end8-_ZN9rocsparseL17kernel_correctionILi1024ELi2EfiiEEvT3_T2_PKS2_S4_PKS1_PKT1_21rocsparse_index_base_S4_S4_S6_PS7_SA_S4_S4_S6_SB_SA_SB_PNS_15floating_traitsIS7_E6data_tEPKSE_
                                        ; -- End function
	.set _ZN9rocsparseL17kernel_correctionILi1024ELi2EfiiEEvT3_T2_PKS2_S4_PKS1_PKT1_21rocsparse_index_base_S4_S4_S6_PS7_SA_S4_S4_S6_SB_SA_SB_PNS_15floating_traitsIS7_E6data_tEPKSE_.num_vgpr, 38
	.set _ZN9rocsparseL17kernel_correctionILi1024ELi2EfiiEEvT3_T2_PKS2_S4_PKS1_PKT1_21rocsparse_index_base_S4_S4_S6_PS7_SA_S4_S4_S6_SB_SA_SB_PNS_15floating_traitsIS7_E6data_tEPKSE_.num_agpr, 0
	.set _ZN9rocsparseL17kernel_correctionILi1024ELi2EfiiEEvT3_T2_PKS2_S4_PKS1_PKT1_21rocsparse_index_base_S4_S4_S6_PS7_SA_S4_S4_S6_SB_SA_SB_PNS_15floating_traitsIS7_E6data_tEPKSE_.numbered_sgpr, 51
	.set _ZN9rocsparseL17kernel_correctionILi1024ELi2EfiiEEvT3_T2_PKS2_S4_PKS1_PKT1_21rocsparse_index_base_S4_S4_S6_PS7_SA_S4_S4_S6_SB_SA_SB_PNS_15floating_traitsIS7_E6data_tEPKSE_.num_named_barrier, 0
	.set _ZN9rocsparseL17kernel_correctionILi1024ELi2EfiiEEvT3_T2_PKS2_S4_PKS1_PKT1_21rocsparse_index_base_S4_S4_S6_PS7_SA_S4_S4_S6_SB_SA_SB_PNS_15floating_traitsIS7_E6data_tEPKSE_.private_seg_size, 0
	.set _ZN9rocsparseL17kernel_correctionILi1024ELi2EfiiEEvT3_T2_PKS2_S4_PKS1_PKT1_21rocsparse_index_base_S4_S4_S6_PS7_SA_S4_S4_S6_SB_SA_SB_PNS_15floating_traitsIS7_E6data_tEPKSE_.uses_vcc, 1
	.set _ZN9rocsparseL17kernel_correctionILi1024ELi2EfiiEEvT3_T2_PKS2_S4_PKS1_PKT1_21rocsparse_index_base_S4_S4_S6_PS7_SA_S4_S4_S6_SB_SA_SB_PNS_15floating_traitsIS7_E6data_tEPKSE_.uses_flat_scratch, 0
	.set _ZN9rocsparseL17kernel_correctionILi1024ELi2EfiiEEvT3_T2_PKS2_S4_PKS1_PKT1_21rocsparse_index_base_S4_S4_S6_PS7_SA_S4_S4_S6_SB_SA_SB_PNS_15floating_traitsIS7_E6data_tEPKSE_.has_dyn_sized_stack, 0
	.set _ZN9rocsparseL17kernel_correctionILi1024ELi2EfiiEEvT3_T2_PKS2_S4_PKS1_PKT1_21rocsparse_index_base_S4_S4_S6_PS7_SA_S4_S4_S6_SB_SA_SB_PNS_15floating_traitsIS7_E6data_tEPKSE_.has_recursion, 0
	.set _ZN9rocsparseL17kernel_correctionILi1024ELi2EfiiEEvT3_T2_PKS2_S4_PKS1_PKT1_21rocsparse_index_base_S4_S4_S6_PS7_SA_S4_S4_S6_SB_SA_SB_PNS_15floating_traitsIS7_E6data_tEPKSE_.has_indirect_call, 0
	.section	.AMDGPU.csdata,"",@progbits
; Kernel info:
; codeLenInByte = 3160
; TotalNumSgprs: 53
; NumVgprs: 38
; ScratchSize: 0
; MemoryBound: 0
; FloatMode: 240
; IeeeMode: 1
; LDSByteSize: 2048 bytes/workgroup (compile time only)
; SGPRBlocks: 0
; VGPRBlocks: 4
; NumSGPRsForWavesPerEU: 53
; NumVGPRsForWavesPerEU: 38
; Occupancy: 16
; WaveLimiterHint : 1
; COMPUTE_PGM_RSRC2:SCRATCH_EN: 0
; COMPUTE_PGM_RSRC2:USER_SGPR: 6
; COMPUTE_PGM_RSRC2:TRAP_HANDLER: 0
; COMPUTE_PGM_RSRC2:TGID_X_EN: 1
; COMPUTE_PGM_RSRC2:TGID_Y_EN: 0
; COMPUTE_PGM_RSRC2:TGID_Z_EN: 0
; COMPUTE_PGM_RSRC2:TIDIG_COMP_CNT: 0
	.section	.text._ZN9rocsparseL17kernel_correctionILi1024ELi4EfiiEEvT3_T2_PKS2_S4_PKS1_PKT1_21rocsparse_index_base_S4_S4_S6_PS7_SA_S4_S4_S6_SB_SA_SB_PNS_15floating_traitsIS7_E6data_tEPKSE_,"axG",@progbits,_ZN9rocsparseL17kernel_correctionILi1024ELi4EfiiEEvT3_T2_PKS2_S4_PKS1_PKT1_21rocsparse_index_base_S4_S4_S6_PS7_SA_S4_S4_S6_SB_SA_SB_PNS_15floating_traitsIS7_E6data_tEPKSE_,comdat
	.globl	_ZN9rocsparseL17kernel_correctionILi1024ELi4EfiiEEvT3_T2_PKS2_S4_PKS1_PKT1_21rocsparse_index_base_S4_S4_S6_PS7_SA_S4_S4_S6_SB_SA_SB_PNS_15floating_traitsIS7_E6data_tEPKSE_ ; -- Begin function _ZN9rocsparseL17kernel_correctionILi1024ELi4EfiiEEvT3_T2_PKS2_S4_PKS1_PKT1_21rocsparse_index_base_S4_S4_S6_PS7_SA_S4_S4_S6_SB_SA_SB_PNS_15floating_traitsIS7_E6data_tEPKSE_
	.p2align	8
	.type	_ZN9rocsparseL17kernel_correctionILi1024ELi4EfiiEEvT3_T2_PKS2_S4_PKS1_PKT1_21rocsparse_index_base_S4_S4_S6_PS7_SA_S4_S4_S6_SB_SA_SB_PNS_15floating_traitsIS7_E6data_tEPKSE_,@function
_ZN9rocsparseL17kernel_correctionILi1024ELi4EfiiEEvT3_T2_PKS2_S4_PKS1_PKT1_21rocsparse_index_base_S4_S4_S6_PS7_SA_S4_S4_S6_SB_SA_SB_PNS_15floating_traitsIS7_E6data_tEPKSE_: ; @_ZN9rocsparseL17kernel_correctionILi1024ELi4EfiiEEvT3_T2_PKS2_S4_PKS1_PKT1_21rocsparse_index_base_S4_S4_S6_PS7_SA_S4_S4_S6_SB_SA_SB_PNS_15floating_traitsIS7_E6data_tEPKSE_
; %bb.0:
	s_load_dword s33, s[4:5], 0x0
	v_lshrrev_b32_e32 v19, 2, v0
	s_lshl_b32 s35, s6, 10
	v_and_b32_e32 v20, 3, v0
	v_mov_b32_e32 v21, 0
	s_mov_b32 s3, exec_lo
	v_or_b32_e32 v1, s35, v19
	s_waitcnt lgkmcnt(0)
	v_cmpx_gt_i32_e64 s33, v1
	s_cbranch_execz .LBB9_64
; %bb.1:
	v_mov_b32_e32 v21, 0
	s_addk_i32 s35, 0x400
	s_mov_b32 s34, exec_lo
	v_cmpx_gt_u32_e64 s35, v1
	s_cbranch_execz .LBB9_63
; %bb.2:
	s_clause 0x6
	s_load_dword s36, s[4:5], 0x28
	s_load_dwordx8 s[8:15], s[4:5], 0x58
	s_load_dwordx8 s[16:23], s[4:5], 0x30
	;; [unrolled: 1-line block ×3, first 2 shown]
	s_load_dword s37, s[4:5], 0x50
	s_load_dwordx2 s[6:7], s[4:5], 0x80
	s_load_dword s38, s[4:5], 0x78
	v_mov_b32_e32 v3, 0
	v_mov_b32_e32 v21, 0
	s_mov_b32 s39, 0
	s_waitcnt lgkmcnt(0)
	v_subrev_nc_u32_e32 v22, s36, v20
	s_branch .LBB9_6
.LBB9_3:                                ;   in Loop: Header=BB9_6 Depth=1
	s_or_b32 exec_lo, exec_lo, s42
.LBB9_4:                                ;   in Loop: Header=BB9_6 Depth=1
	s_or_b32 exec_lo, exec_lo, s41
.LBB9_5:                                ;   in Loop: Header=BB9_6 Depth=1
	s_or_b32 exec_lo, exec_lo, s40
	v_add_nc_u32_e32 v1, 0x100, v1
	v_cmp_le_u32_e32 vcc_lo, s35, v1
	s_or_b32 s39, vcc_lo, s39
	s_andn2_b32 exec_lo, exec_lo, s39
	s_cbranch_execz .LBB9_62
.LBB9_6:                                ; =>This Loop Header: Depth=1
                                        ;     Child Loop BB9_10 Depth 2
                                        ;       Child Loop BB9_14 Depth 3
                                        ;       Child Loop BB9_27 Depth 3
	;; [unrolled: 1-line block ×5, first 2 shown]
	s_mov_b32 s40, exec_lo
	v_cmpx_gt_i32_e64 s33, v1
	s_cbranch_execz .LBB9_5
; %bb.7:                                ;   in Loop: Header=BB9_6 Depth=1
	v_ashrrev_i32_e32 v2, 31, v1
	s_mov_b32 s41, exec_lo
	v_lshlrev_b64 v[5:6], 2, v[1:2]
	v_add_co_u32 v7, vcc_lo, s24, v5
	v_add_co_ci_u32_e64 v8, null, s25, v6, vcc_lo
	v_add_co_u32 v9, vcc_lo, s26, v5
	v_add_co_ci_u32_e64 v10, null, s27, v6, vcc_lo
	global_load_dword v2, v[7:8], off
	global_load_dword v7, v[9:10], off
	s_waitcnt vmcnt(1)
	v_add_nc_u32_e32 v4, v22, v2
	s_waitcnt vmcnt(0)
	v_subrev_nc_u32_e32 v23, s36, v7
	v_cmpx_lt_i32_e64 v4, v23
	s_cbranch_execz .LBB9_4
; %bb.8:                                ;   in Loop: Header=BB9_6 Depth=1
	v_add_co_u32 v7, vcc_lo, s16, v5
	v_add_co_ci_u32_e64 v8, null, s17, v6, vcc_lo
	v_add_co_u32 v5, vcc_lo, s18, v5
	v_add_co_ci_u32_e64 v6, null, s19, v6, vcc_lo
	global_load_dword v2, v[7:8], off
	s_mov_b32 s42, 0
	global_load_dword v5, v[5:6], off
	s_waitcnt vmcnt(1)
	v_subrev_nc_u32_e32 v6, s37, v2
	s_waitcnt vmcnt(0)
	v_sub_nc_u32_e32 v24, v5, v2
	v_ashrrev_i32_e32 v7, 31, v6
	v_cmp_lt_i32_e64 s0, 0, v24
	v_lshlrev_b64 v[7:8], 2, v[6:7]
	v_add_co_u32 v25, vcc_lo, s20, v7
	v_add_co_ci_u32_e64 v26, null, s21, v8, vcc_lo
	v_add_co_u32 v27, vcc_lo, s22, v7
	v_add_co_ci_u32_e64 v28, null, s23, v8, vcc_lo
	s_branch .LBB9_10
.LBB9_9:                                ;   in Loop: Header=BB9_10 Depth=2
	s_or_b32 exec_lo, exec_lo, s2
	v_sub_f32_e32 v2, v15, v5
	v_add_nc_u32_e32 v4, 4, v4
	v_cmp_nlg_f32_e64 s1, 0x7f800000, |v2|
	v_cmp_gt_f32_e64 s2, v21, |v2|
	v_cmp_ge_i32_e32 vcc_lo, v4, v23
	s_or_b32 s1, s1, s2
	s_or_b32 s42, vcc_lo, s42
	v_cndmask_b32_e64 v21, |v2|, v21, s1
	s_andn2_b32 exec_lo, exec_lo, s42
	s_cbranch_execz .LBB9_3
.LBB9_10:                               ;   Parent Loop BB9_6 Depth=1
                                        ; =>  This Loop Header: Depth=2
                                        ;       Child Loop BB9_14 Depth 3
                                        ;       Child Loop BB9_27 Depth 3
	;; [unrolled: 1-line block ×5, first 2 shown]
	v_ashrrev_i32_e32 v5, 31, v4
	v_lshlrev_b64 v[13:14], 2, v[4:5]
	v_mov_b32_e32 v5, 0
	v_add_co_u32 v7, vcc_lo, s28, v13
	v_add_co_ci_u32_e64 v8, null, s29, v14, vcc_lo
	global_load_dword v2, v[7:8], off
	s_waitcnt vmcnt(0)
	v_subrev_nc_u32_e32 v7, s36, v2
	v_ashrrev_i32_e32 v8, 31, v7
	v_lshlrev_b64 v[11:12], 2, v[7:8]
	v_add_co_u32 v8, vcc_lo, s8, v11
	v_add_co_ci_u32_e64 v9, null, s9, v12, vcc_lo
	v_add_co_u32 v15, vcc_lo, s10, v11
	v_add_co_ci_u32_e64 v16, null, s11, v12, vcc_lo
	global_load_dword v2, v[8:9], off
	global_load_dword v10, v[15:16], off
	v_mov_b32_e32 v9, 0
	s_waitcnt vmcnt(1)
	v_subrev_nc_u32_e32 v8, s38, v2
	s_waitcnt vmcnt(0)
	v_sub_nc_u32_e32 v29, v10, v2
	v_mov_b32_e32 v2, v9
	s_and_saveexec_b32 s2, s0
	s_cbranch_execz .LBB9_18
; %bb.11:                               ;   in Loop: Header=BB9_10 Depth=2
	v_ashrrev_i32_e32 v9, 31, v8
	v_mov_b32_e32 v5, 0
	v_mov_b32_e32 v2, 0
	s_mov_b32 s43, 0
                                        ; implicit-def: $sgpr44
	v_lshlrev_b64 v[9:10], 2, v[8:9]
	v_add_co_u32 v30, vcc_lo, s12, v9
	v_add_co_ci_u32_e64 v31, null, s13, v10, vcc_lo
	v_add_co_u32 v32, vcc_lo, s14, v9
	v_add_co_ci_u32_e64 v33, null, s15, v10, vcc_lo
	v_mov_b32_e32 v9, 0
	s_branch .LBB9_14
.LBB9_12:                               ;   in Loop: Header=BB9_14 Depth=3
	s_or_b32 exec_lo, exec_lo, s1
	v_cmp_le_i32_e32 vcc_lo, v10, v34
	v_cmp_ge_i32_e64 s1, v10, v34
	v_add_co_ci_u32_e64 v2, null, 0, v2, vcc_lo
	v_add_co_ci_u32_e64 v9, null, 0, v9, s1
	s_andn2_b32 s1, s44, exec_lo
	v_cmp_ge_i32_e32 vcc_lo, v2, v24
	s_and_b32 s44, vcc_lo, exec_lo
	s_or_b32 s44, s1, s44
.LBB9_13:                               ;   in Loop: Header=BB9_14 Depth=3
	s_or_b32 exec_lo, exec_lo, s45
	s_and_b32 s1, exec_lo, s44
	s_or_b32 s43, s1, s43
	s_andn2_b32 exec_lo, exec_lo, s43
	s_cbranch_execz .LBB9_17
.LBB9_14:                               ;   Parent Loop BB9_6 Depth=1
                                        ;     Parent Loop BB9_10 Depth=2
                                        ; =>    This Inner Loop Header: Depth=3
	s_or_b32 s44, s44, exec_lo
	s_mov_b32 s45, exec_lo
	v_cmpx_lt_i32_e64 v9, v29
	s_cbranch_execz .LBB9_13
; %bb.15:                               ;   in Loop: Header=BB9_14 Depth=3
	v_mov_b32_e32 v10, v3
	v_lshlrev_b64 v[17:18], 2, v[2:3]
	s_mov_b32 s1, exec_lo
	v_lshlrev_b64 v[15:16], 2, v[9:10]
	v_add_co_u32 v34, vcc_lo, v25, v17
	v_add_co_ci_u32_e64 v35, null, v26, v18, vcc_lo
	v_add_co_u32 v36, vcc_lo, v30, v15
	v_add_co_ci_u32_e64 v37, null, v31, v16, vcc_lo
	global_load_dword v10, v[34:35], off
	global_load_dword v34, v[36:37], off
	s_waitcnt vmcnt(1)
	v_subrev_nc_u32_e32 v10, s37, v10
	s_waitcnt vmcnt(0)
	v_subrev_nc_u32_e32 v34, s38, v34
	v_cmpx_eq_u32_e64 v10, v34
	s_cbranch_execz .LBB9_12
; %bb.16:                               ;   in Loop: Header=BB9_14 Depth=3
	v_add_co_u32 v17, vcc_lo, v27, v17
	v_add_co_ci_u32_e64 v18, null, v28, v18, vcc_lo
	v_add_co_u32 v15, vcc_lo, v32, v15
	v_add_co_ci_u32_e64 v16, null, v33, v16, vcc_lo
	global_load_dword v17, v[17:18], off
	global_load_dword v15, v[15:16], off
	s_waitcnt vmcnt(0)
	v_fmac_f32_e32 v5, v17, v15
	s_branch .LBB9_12
.LBB9_17:                               ;   in Loop: Header=BB9_10 Depth=2
	s_or_b32 exec_lo, exec_lo, s43
.LBB9_18:                               ;   in Loop: Header=BB9_10 Depth=2
	s_or_b32 exec_lo, exec_lo, s2
	v_add_co_u32 v13, vcc_lo, s30, v13
	v_add_co_ci_u32_e64 v14, null, s31, v14, vcc_lo
	v_cmp_le_i32_e64 s1, v1, v7
	s_mov_b32 s2, exec_lo
	global_load_dword v15, v[13:14], off
	s_waitcnt vmcnt(0)
	v_sub_f32_e32 v16, v15, v5
	v_cmpx_gt_i32_e64 v1, v7
	s_cbranch_execz .LBB9_20
; %bb.19:                               ;   in Loop: Header=BB9_10 Depth=2
	v_add_co_u32 v13, vcc_lo, s6, v11
	v_add_co_ci_u32_e64 v14, null, s7, v12, vcc_lo
	global_load_dword v10, v[13:14], off
	s_waitcnt vmcnt(0)
	v_div_scale_f32 v13, null, v10, v10, v16
	v_rcp_f32_e32 v14, v13
	v_fma_f32 v17, -v13, v14, 1.0
	v_fmac_f32_e32 v14, v17, v14
	v_div_scale_f32 v17, vcc_lo, v16, v10, v16
	v_mul_f32_e32 v18, v17, v14
	v_fma_f32 v30, -v13, v18, v17
	v_fmac_f32_e32 v18, v30, v14
	v_fma_f32 v13, -v13, v18, v17
	v_div_fmas_f32 v13, v13, v14, v18
	v_div_fixup_f32 v16, v13, v10, v16
.LBB9_20:                               ;   in Loop: Header=BB9_10 Depth=2
	s_or_b32 exec_lo, exec_lo, s2
	s_mov_b32 s43, exec_lo
	v_cmp_lt_i32_e32 vcc_lo, v9, v29
	v_cmpx_ge_i32_e64 v9, v29
	s_xor_b32 s43, exec_lo, s43
	s_cbranch_execnz .LBB9_24
; %bb.21:                               ;   in Loop: Header=BB9_10 Depth=2
	s_andn2_saveexec_b32 s43, s43
	s_cbranch_execnz .LBB9_33
.LBB9_22:                               ;   in Loop: Header=BB9_10 Depth=2
	s_or_b32 exec_lo, exec_lo, s43
	s_mov_b32 s43, exec_lo
	v_cmpx_eq_u32_e64 v1, v7
	s_cbranch_execnz .LBB9_40
.LBB9_23:                               ;   in Loop: Header=BB9_10 Depth=2
	s_or_b32 exec_lo, exec_lo, s43
	v_cmp_class_f32_e64 s43, v16, 0x1f8
	s_and_saveexec_b32 s2, s43
	s_cbranch_execz .LBB9_9
	s_branch .LBB9_41
.LBB9_24:                               ;   in Loop: Header=BB9_10 Depth=2
	s_mov_b32 s44, exec_lo
	v_cmpx_lt_i32_e64 v2, v24
	s_cbranch_execz .LBB9_32
; %bb.25:                               ;   in Loop: Header=BB9_10 Depth=2
	v_mov_b32_e32 v10, v2
	s_mov_b32 s45, 0
                                        ; implicit-def: $sgpr46
                                        ; implicit-def: $sgpr48
                                        ; implicit-def: $sgpr47
	s_inst_prefetch 0x1
	s_branch .LBB9_27
	.p2align	6
.LBB9_26:                               ;   in Loop: Header=BB9_27 Depth=3
	s_or_b32 exec_lo, exec_lo, s49
	s_and_b32 s2, exec_lo, s48
	s_or_b32 s45, s2, s45
	s_andn2_b32 s2, s46, exec_lo
	s_and_b32 s46, s47, exec_lo
	s_or_b32 s46, s2, s46
	s_andn2_b32 exec_lo, exec_lo, s45
	s_cbranch_execz .LBB9_29
.LBB9_27:                               ;   Parent Loop BB9_6 Depth=1
                                        ;     Parent Loop BB9_10 Depth=2
                                        ; =>    This Inner Loop Header: Depth=3
	v_add_nc_u32_e32 v13, v6, v10
	s_or_b32 s47, s47, exec_lo
	s_or_b32 s48, s48, exec_lo
	s_mov_b32 s49, exec_lo
	v_ashrrev_i32_e32 v14, 31, v13
	v_lshlrev_b64 v[13:14], 2, v[13:14]
	v_add_co_u32 v17, s2, s20, v13
	v_add_co_ci_u32_e64 v18, null, s21, v14, s2
	global_load_dword v17, v[17:18], off
	s_waitcnt vmcnt(0)
	v_subrev_nc_u32_e32 v17, s37, v17
	v_cmpx_ne_u32_e64 v17, v7
	s_cbranch_execz .LBB9_26
; %bb.28:                               ;   in Loop: Header=BB9_27 Depth=3
	v_add_nc_u32_e32 v10, 1, v10
	s_andn2_b32 s48, s48, exec_lo
	s_andn2_b32 s47, s47, exec_lo
	v_cmp_ge_i32_e64 s2, v10, v24
	s_and_b32 s2, s2, exec_lo
	s_or_b32 s48, s48, s2
	s_branch .LBB9_26
.LBB9_29:                               ;   in Loop: Header=BB9_10 Depth=2
	s_inst_prefetch 0x2
	s_or_b32 exec_lo, exec_lo, s45
	s_and_saveexec_b32 s2, s46
	s_xor_b32 s45, exec_lo, s2
	s_cbranch_execz .LBB9_31
; %bb.30:                               ;   in Loop: Header=BB9_10 Depth=2
	v_add_co_u32 v13, s2, s22, v13
	v_add_co_ci_u32_e64 v14, null, s23, v14, s2
	v_add_co_u32 v17, s2, s6, v11
	v_add_co_ci_u32_e64 v18, null, s7, v12, s2
	global_load_dword v10, v[13:14], off
	global_load_dword v13, v[17:18], off
	s_waitcnt vmcnt(0)
	v_fmac_f32_e32 v5, v10, v13
.LBB9_31:                               ;   in Loop: Header=BB9_10 Depth=2
	s_or_b32 exec_lo, exec_lo, s45
.LBB9_32:                               ;   in Loop: Header=BB9_10 Depth=2
	s_or_b32 exec_lo, exec_lo, s44
	s_andn2_saveexec_b32 s43, s43
	s_cbranch_execz .LBB9_22
.LBB9_33:                               ;   in Loop: Header=BB9_10 Depth=2
	v_mov_b32_e32 v10, v9
	s_mov_b32 s44, 0
                                        ; implicit-def: $sgpr45
                                        ; implicit-def: $sgpr47
                                        ; implicit-def: $sgpr46
	s_inst_prefetch 0x1
	s_branch .LBB9_35
	.p2align	6
.LBB9_34:                               ;   in Loop: Header=BB9_35 Depth=3
	s_or_b32 exec_lo, exec_lo, s48
	s_and_b32 s2, exec_lo, s47
	s_or_b32 s44, s2, s44
	s_andn2_b32 s2, s45, exec_lo
	s_and_b32 s45, s46, exec_lo
	s_or_b32 s45, s2, s45
	s_andn2_b32 exec_lo, exec_lo, s44
	s_cbranch_execz .LBB9_37
.LBB9_35:                               ;   Parent Loop BB9_6 Depth=1
                                        ;     Parent Loop BB9_10 Depth=2
                                        ; =>    This Inner Loop Header: Depth=3
	v_add_nc_u32_e32 v13, v8, v10
	s_or_b32 s46, s46, exec_lo
	s_or_b32 s47, s47, exec_lo
	s_mov_b32 s48, exec_lo
	v_ashrrev_i32_e32 v14, 31, v13
	v_lshlrev_b64 v[13:14], 2, v[13:14]
	v_add_co_u32 v17, s2, s12, v13
	v_add_co_ci_u32_e64 v18, null, s13, v14, s2
	global_load_dword v17, v[17:18], off
	s_waitcnt vmcnt(0)
	v_subrev_nc_u32_e32 v17, s38, v17
	v_cmpx_ne_u32_e64 v17, v1
	s_cbranch_execz .LBB9_34
; %bb.36:                               ;   in Loop: Header=BB9_35 Depth=3
	v_add_nc_u32_e32 v10, 1, v10
	s_andn2_b32 s47, s47, exec_lo
	s_andn2_b32 s46, s46, exec_lo
	v_cmp_ge_i32_e64 s2, v10, v29
	s_and_b32 s2, s2, exec_lo
	s_or_b32 s47, s47, s2
	s_branch .LBB9_34
.LBB9_37:                               ;   in Loop: Header=BB9_10 Depth=2
	s_inst_prefetch 0x2
	s_or_b32 exec_lo, exec_lo, s44
	s_and_saveexec_b32 s2, s45
	s_xor_b32 s44, exec_lo, s2
	s_cbranch_execz .LBB9_39
; %bb.38:                               ;   in Loop: Header=BB9_10 Depth=2
	v_add_co_u32 v13, s2, s14, v13
	v_add_co_ci_u32_e64 v14, null, s15, v14, s2
	global_load_dword v10, v[13:14], off
	s_waitcnt vmcnt(0)
	v_add_f32_e32 v5, v5, v10
.LBB9_39:                               ;   in Loop: Header=BB9_10 Depth=2
	s_or_b32 exec_lo, exec_lo, s44
	s_or_b32 exec_lo, exec_lo, s43
	s_mov_b32 s43, exec_lo
	v_cmpx_eq_u32_e64 v1, v7
	s_cbranch_execz .LBB9_23
.LBB9_40:                               ;   in Loop: Header=BB9_10 Depth=2
	v_add_co_u32 v13, s2, s6, v11
	v_add_co_ci_u32_e64 v14, null, s7, v12, s2
	global_load_dword v10, v[13:14], off
	s_waitcnt vmcnt(0)
	v_add_f32_e32 v5, v5, v10
	s_or_b32 exec_lo, exec_lo, s43
	v_cmp_class_f32_e64 s43, v16, 0x1f8
	s_and_saveexec_b32 s2, s43
	s_cbranch_execz .LBB9_9
.LBB9_41:                               ;   in Loop: Header=BB9_10 Depth=2
	s_and_saveexec_b32 s43, s1
	s_xor_b32 s43, exec_lo, s43
	s_cbranch_execz .LBB9_54
; %bb.42:                               ;   in Loop: Header=BB9_10 Depth=2
	s_mov_b32 s44, exec_lo
	v_cmpx_ge_i32_e64 v1, v7
	s_xor_b32 s44, exec_lo, s44
	s_cbranch_execz .LBB9_44
; %bb.43:                               ;   in Loop: Header=BB9_10 Depth=2
	v_add_co_u32 v7, s1, s6, v11
	v_add_co_ci_u32_e64 v8, null, s7, v12, s1
                                        ; implicit-def: $vgpr9
                                        ; implicit-def: $vgpr29
	global_store_dword v[7:8], v16, off
                                        ; implicit-def: $vgpr16
                                        ; implicit-def: $vgpr8
.LBB9_44:                               ;   in Loop: Header=BB9_10 Depth=2
	s_andn2_saveexec_b32 s1, s44
	s_cbranch_execz .LBB9_53
; %bb.45:                               ;   in Loop: Header=BB9_10 Depth=2
	s_and_saveexec_b32 s44, vcc_lo
	s_cbranch_execz .LBB9_52
; %bb.46:                               ;   in Loop: Header=BB9_10 Depth=2
	s_mov_b32 s45, 0
                                        ; implicit-def: $sgpr46
                                        ; implicit-def: $sgpr48
                                        ; implicit-def: $sgpr47
	s_inst_prefetch 0x1
	s_branch .LBB9_48
	.p2align	6
.LBB9_47:                               ;   in Loop: Header=BB9_48 Depth=3
	s_or_b32 exec_lo, exec_lo, s49
	s_and_b32 s49, exec_lo, s48
	s_or_b32 s45, s49, s45
	s_andn2_b32 s46, s46, exec_lo
	s_and_b32 s49, s47, exec_lo
	s_or_b32 s46, s46, s49
	s_andn2_b32 exec_lo, exec_lo, s45
	s_cbranch_execz .LBB9_50
.LBB9_48:                               ;   Parent Loop BB9_6 Depth=1
                                        ;     Parent Loop BB9_10 Depth=2
                                        ; =>    This Inner Loop Header: Depth=3
	v_add_nc_u32_e32 v10, v8, v9
	s_or_b32 s47, s47, exec_lo
	s_or_b32 s48, s48, exec_lo
	s_mov_b32 s49, exec_lo
	v_ashrrev_i32_e32 v11, 31, v10
	v_lshlrev_b64 v[10:11], 2, v[10:11]
	v_add_co_u32 v12, vcc_lo, s12, v10
	v_add_co_ci_u32_e64 v13, null, s13, v11, vcc_lo
	global_load_dword v2, v[12:13], off
	s_waitcnt vmcnt(0)
	v_subrev_nc_u32_e32 v2, s38, v2
	v_cmpx_ne_u32_e64 v2, v1
	s_cbranch_execz .LBB9_47
; %bb.49:                               ;   in Loop: Header=BB9_48 Depth=3
	v_add_nc_u32_e32 v9, 1, v9
	s_andn2_b32 s48, s48, exec_lo
	s_andn2_b32 s47, s47, exec_lo
	v_cmp_ge_i32_e32 vcc_lo, v9, v29
	s_and_b32 s50, vcc_lo, exec_lo
	s_or_b32 s48, s48, s50
	s_branch .LBB9_47
.LBB9_50:                               ;   in Loop: Header=BB9_10 Depth=2
	s_inst_prefetch 0x2
	s_or_b32 exec_lo, exec_lo, s45
	s_and_saveexec_b32 s45, s46
	s_xor_b32 s45, exec_lo, s45
	s_cbranch_execz .LBB9_52
; %bb.51:                               ;   in Loop: Header=BB9_10 Depth=2
	v_add_co_u32 v7, vcc_lo, s14, v10
	v_add_co_ci_u32_e64 v8, null, s15, v11, vcc_lo
	global_store_dword v[7:8], v16, off
.LBB9_52:                               ;   in Loop: Header=BB9_10 Depth=2
	s_or_b32 exec_lo, exec_lo, s44
.LBB9_53:                               ;   in Loop: Header=BB9_10 Depth=2
	s_or_b32 exec_lo, exec_lo, s1
                                        ; implicit-def: $vgpr16
                                        ; implicit-def: $vgpr7_vgpr8
.LBB9_54:                               ;   in Loop: Header=BB9_10 Depth=2
	s_andn2_saveexec_b32 s1, s43
	s_cbranch_execz .LBB9_9
; %bb.55:                               ;   in Loop: Header=BB9_10 Depth=2
	v_cmp_lt_i32_e32 vcc_lo, v2, v24
	s_and_b32 exec_lo, exec_lo, vcc_lo
	s_cbranch_execz .LBB9_9
; %bb.56:                               ;   in Loop: Header=BB9_10 Depth=2
	s_mov_b32 s1, 0
                                        ; implicit-def: $sgpr43
                                        ; implicit-def: $sgpr45
                                        ; implicit-def: $sgpr44
	s_inst_prefetch 0x1
	s_branch .LBB9_58
	.p2align	6
.LBB9_57:                               ;   in Loop: Header=BB9_58 Depth=3
	s_or_b32 exec_lo, exec_lo, s46
	s_and_b32 s46, exec_lo, s45
	s_or_b32 s1, s46, s1
	s_andn2_b32 s43, s43, exec_lo
	s_and_b32 s46, s44, exec_lo
	s_or_b32 s43, s43, s46
	s_andn2_b32 exec_lo, exec_lo, s1
	s_cbranch_execz .LBB9_60
.LBB9_58:                               ;   Parent Loop BB9_6 Depth=1
                                        ;     Parent Loop BB9_10 Depth=2
                                        ; =>    This Inner Loop Header: Depth=3
	v_add_nc_u32_e32 v8, v6, v2
	s_or_b32 s44, s44, exec_lo
	s_or_b32 s45, s45, exec_lo
	s_mov_b32 s46, exec_lo
	v_ashrrev_i32_e32 v9, 31, v8
	v_lshlrev_b64 v[8:9], 2, v[8:9]
	v_add_co_u32 v10, vcc_lo, s20, v8
	v_add_co_ci_u32_e64 v11, null, s21, v9, vcc_lo
	global_load_dword v10, v[10:11], off
	s_waitcnt vmcnt(0)
	v_subrev_nc_u32_e32 v10, s37, v10
	v_cmpx_ne_u32_e64 v10, v7
	s_cbranch_execz .LBB9_57
; %bb.59:                               ;   in Loop: Header=BB9_58 Depth=3
	v_add_nc_u32_e32 v2, 1, v2
	s_andn2_b32 s45, s45, exec_lo
	s_andn2_b32 s44, s44, exec_lo
	v_cmp_ge_i32_e32 vcc_lo, v2, v24
	s_and_b32 s47, vcc_lo, exec_lo
	s_or_b32 s45, s45, s47
	s_branch .LBB9_57
.LBB9_60:                               ;   in Loop: Header=BB9_10 Depth=2
	s_inst_prefetch 0x2
	s_or_b32 exec_lo, exec_lo, s1
	s_and_saveexec_b32 s1, s43
	s_xor_b32 s1, exec_lo, s1
	s_cbranch_execz .LBB9_9
; %bb.61:                               ;   in Loop: Header=BB9_10 Depth=2
	v_add_co_u32 v7, vcc_lo, s22, v8
	v_add_co_ci_u32_e64 v8, null, s23, v9, vcc_lo
	global_store_dword v[7:8], v16, off
	s_branch .LBB9_9
.LBB9_62:
	s_or_b32 exec_lo, exec_lo, s39
.LBB9_63:
	s_or_b32 exec_lo, exec_lo, s34
.LBB9_64:
	s_or_b32 exec_lo, exec_lo, s3
	v_mbcnt_lo_u32_b32 v1, -1, 0
	s_mov_b32 s0, exec_lo
	v_xor_b32_e32 v2, 2, v1
	v_xor_b32_e32 v3, 1, v1
	v_cmp_gt_i32_e32 vcc_lo, 32, v2
	v_cndmask_b32_e32 v2, v1, v2, vcc_lo
	v_cmp_gt_i32_e32 vcc_lo, 32, v3
	v_lshlrev_b32_e32 v2, 2, v2
	v_cndmask_b32_e32 v3, v1, v3, vcc_lo
	ds_bpermute_b32 v2, v2, v21
	s_waitcnt lgkmcnt(0)
	v_cmp_lt_f32_e32 vcc_lo, v21, v2
	v_cndmask_b32_e32 v1, v21, v2, vcc_lo
	v_lshlrev_b32_e32 v2, 2, v3
	ds_bpermute_b32 v2, v2, v1
	v_cmpx_eq_u32_e32 3, v20
	s_cbranch_execz .LBB9_66
; %bb.65:
	s_waitcnt lgkmcnt(0)
	v_cmp_lt_f32_e32 vcc_lo, v1, v2
	v_lshlrev_b32_e32 v3, 2, v19
	v_cndmask_b32_e32 v1, v1, v2, vcc_lo
	ds_write_b32 v3, v1
.LBB9_66:
	s_or_b32 exec_lo, exec_lo, s0
	v_lshlrev_b32_e32 v1, 2, v0
	s_mov_b32 s0, exec_lo
	s_waitcnt lgkmcnt(0)
	s_waitcnt_vscnt null, 0x0
	s_barrier
	buffer_gl0_inv
	v_cmpx_gt_u32_e32 0x80, v0
	s_cbranch_execz .LBB9_68
; %bb.67:
	ds_read2st64_b32 v[2:3], v1 offset1:2
	s_waitcnt lgkmcnt(0)
	v_cmp_lt_f32_e32 vcc_lo, v2, v3
	v_cndmask_b32_e32 v2, v2, v3, vcc_lo
	ds_write_b32 v1, v2
.LBB9_68:
	s_or_b32 exec_lo, exec_lo, s0
	s_mov_b32 s0, exec_lo
	s_waitcnt lgkmcnt(0)
	s_barrier
	buffer_gl0_inv
	v_cmpx_gt_u32_e32 64, v0
	s_cbranch_execz .LBB9_70
; %bb.69:
	ds_read2st64_b32 v[2:3], v1 offset1:1
	s_waitcnt lgkmcnt(0)
	v_cmp_lt_f32_e32 vcc_lo, v2, v3
	v_cndmask_b32_e32 v2, v2, v3, vcc_lo
	ds_write_b32 v1, v2
.LBB9_70:
	s_or_b32 exec_lo, exec_lo, s0
	s_mov_b32 s0, exec_lo
	s_waitcnt lgkmcnt(0)
	s_barrier
	buffer_gl0_inv
	v_cmpx_gt_u32_e32 32, v0
	s_cbranch_execz .LBB9_72
; %bb.71:
	ds_read2_b32 v[2:3], v1 offset1:32
	s_waitcnt lgkmcnt(0)
	v_cmp_lt_f32_e32 vcc_lo, v2, v3
	v_cndmask_b32_e32 v2, v2, v3, vcc_lo
	ds_write_b32 v1, v2
.LBB9_72:
	s_or_b32 exec_lo, exec_lo, s0
	s_mov_b32 s0, exec_lo
	s_waitcnt lgkmcnt(0)
	s_barrier
	buffer_gl0_inv
	v_cmpx_gt_u32_e32 16, v0
	s_cbranch_execz .LBB9_74
; %bb.73:
	ds_read2_b32 v[2:3], v1 offset1:16
	s_waitcnt lgkmcnt(0)
	v_cmp_lt_f32_e32 vcc_lo, v2, v3
	v_cndmask_b32_e32 v2, v2, v3, vcc_lo
	ds_write_b32 v1, v2
.LBB9_74:
	;; [unrolled: 14-line block ×5, first 2 shown]
	s_or_b32 exec_lo, exec_lo, s0
	v_cmp_eq_u32_e32 vcc_lo, 0, v0
	s_waitcnt lgkmcnt(0)
	s_barrier
	buffer_gl0_inv
	s_and_saveexec_b32 s1, vcc_lo
	s_cbranch_execz .LBB9_82
; %bb.81:
	v_mov_b32_e32 v2, 0
	ds_read_b64 v[0:1], v2
	s_waitcnt lgkmcnt(0)
	v_cmp_lt_f32_e64 s0, v0, v1
	v_cndmask_b32_e64 v0, v0, v1, s0
	ds_write_b32 v2, v0
.LBB9_82:
	s_or_b32 exec_lo, exec_lo, s1
	s_waitcnt lgkmcnt(0)
	s_barrier
	buffer_gl0_inv
	s_and_saveexec_b32 s0, vcc_lo
	s_cbranch_execz .LBB9_86
; %bb.83:
	v_mbcnt_lo_u32_b32 v0, exec_lo, 0
	s_mov_b32 s6, 0
	v_cmp_eq_u32_e32 vcc_lo, 0, v0
	s_and_b32 exec_lo, exec_lo, vcc_lo
	s_cbranch_execz .LBB9_86
; %bb.84:
	s_load_dwordx4 s[0:3], s[4:5], 0x88
	v_mov_b32_e32 v2, 0
	ds_read_b32 v0, v2
	s_waitcnt lgkmcnt(0)
	s_load_dword s2, s[2:3], 0x0
	s_load_dword s3, s[0:1], 0x0
	s_waitcnt lgkmcnt(0)
	v_div_scale_f32 v1, null, s2, s2, v0
	v_rcp_f32_e32 v3, v1
	v_fma_f32 v4, -v1, v3, 1.0
	v_fmac_f32_e32 v3, v4, v3
	v_div_scale_f32 v4, vcc_lo, v0, s2, v0
	v_mul_f32_e32 v5, v4, v3
	v_fma_f32 v6, -v1, v5, v4
	v_fmac_f32_e32 v5, v6, v3
	v_fma_f32 v1, -v1, v5, v4
	v_div_fmas_f32 v1, v1, v3, v5
	v_div_fixup_f32 v0, v1, s2, v0
	v_mov_b32_e32 v1, s3
	v_max_f32_e32 v3, v0, v0
.LBB9_85:                               ; =>This Inner Loop Header: Depth=1
	v_max_f32_e32 v0, v1, v1
	v_max_f32_e32 v0, v0, v3
	global_atomic_cmpswap v0, v2, v[0:1], s[0:1] glc
	s_waitcnt vmcnt(0)
	v_cmp_eq_u32_e32 vcc_lo, v0, v1
	v_mov_b32_e32 v1, v0
	s_or_b32 s6, vcc_lo, s6
	s_andn2_b32 exec_lo, exec_lo, s6
	s_cbranch_execnz .LBB9_85
.LBB9_86:
	s_endpgm
	.section	.rodata,"a",@progbits
	.p2align	6, 0x0
	.amdhsa_kernel _ZN9rocsparseL17kernel_correctionILi1024ELi4EfiiEEvT3_T2_PKS2_S4_PKS1_PKT1_21rocsparse_index_base_S4_S4_S6_PS7_SA_S4_S4_S6_SB_SA_SB_PNS_15floating_traitsIS7_E6data_tEPKSE_
		.amdhsa_group_segment_fixed_size 1024
		.amdhsa_private_segment_fixed_size 0
		.amdhsa_kernarg_size 152
		.amdhsa_user_sgpr_count 6
		.amdhsa_user_sgpr_private_segment_buffer 1
		.amdhsa_user_sgpr_dispatch_ptr 0
		.amdhsa_user_sgpr_queue_ptr 0
		.amdhsa_user_sgpr_kernarg_segment_ptr 1
		.amdhsa_user_sgpr_dispatch_id 0
		.amdhsa_user_sgpr_flat_scratch_init 0
		.amdhsa_user_sgpr_private_segment_size 0
		.amdhsa_wavefront_size32 1
		.amdhsa_uses_dynamic_stack 0
		.amdhsa_system_sgpr_private_segment_wavefront_offset 0
		.amdhsa_system_sgpr_workgroup_id_x 1
		.amdhsa_system_sgpr_workgroup_id_y 0
		.amdhsa_system_sgpr_workgroup_id_z 0
		.amdhsa_system_sgpr_workgroup_info 0
		.amdhsa_system_vgpr_workitem_id 0
		.amdhsa_next_free_vgpr 38
		.amdhsa_next_free_sgpr 51
		.amdhsa_reserve_vcc 1
		.amdhsa_reserve_flat_scratch 0
		.amdhsa_float_round_mode_32 0
		.amdhsa_float_round_mode_16_64 0
		.amdhsa_float_denorm_mode_32 3
		.amdhsa_float_denorm_mode_16_64 3
		.amdhsa_dx10_clamp 1
		.amdhsa_ieee_mode 1
		.amdhsa_fp16_overflow 0
		.amdhsa_workgroup_processor_mode 1
		.amdhsa_memory_ordered 1
		.amdhsa_forward_progress 1
		.amdhsa_shared_vgpr_count 0
		.amdhsa_exception_fp_ieee_invalid_op 0
		.amdhsa_exception_fp_denorm_src 0
		.amdhsa_exception_fp_ieee_div_zero 0
		.amdhsa_exception_fp_ieee_overflow 0
		.amdhsa_exception_fp_ieee_underflow 0
		.amdhsa_exception_fp_ieee_inexact 0
		.amdhsa_exception_int_div_zero 0
	.end_amdhsa_kernel
	.section	.text._ZN9rocsparseL17kernel_correctionILi1024ELi4EfiiEEvT3_T2_PKS2_S4_PKS1_PKT1_21rocsparse_index_base_S4_S4_S6_PS7_SA_S4_S4_S6_SB_SA_SB_PNS_15floating_traitsIS7_E6data_tEPKSE_,"axG",@progbits,_ZN9rocsparseL17kernel_correctionILi1024ELi4EfiiEEvT3_T2_PKS2_S4_PKS1_PKT1_21rocsparse_index_base_S4_S4_S6_PS7_SA_S4_S4_S6_SB_SA_SB_PNS_15floating_traitsIS7_E6data_tEPKSE_,comdat
.Lfunc_end9:
	.size	_ZN9rocsparseL17kernel_correctionILi1024ELi4EfiiEEvT3_T2_PKS2_S4_PKS1_PKT1_21rocsparse_index_base_S4_S4_S6_PS7_SA_S4_S4_S6_SB_SA_SB_PNS_15floating_traitsIS7_E6data_tEPKSE_, .Lfunc_end9-_ZN9rocsparseL17kernel_correctionILi1024ELi4EfiiEEvT3_T2_PKS2_S4_PKS1_PKT1_21rocsparse_index_base_S4_S4_S6_PS7_SA_S4_S4_S6_SB_SA_SB_PNS_15floating_traitsIS7_E6data_tEPKSE_
                                        ; -- End function
	.set _ZN9rocsparseL17kernel_correctionILi1024ELi4EfiiEEvT3_T2_PKS2_S4_PKS1_PKT1_21rocsparse_index_base_S4_S4_S6_PS7_SA_S4_S4_S6_SB_SA_SB_PNS_15floating_traitsIS7_E6data_tEPKSE_.num_vgpr, 38
	.set _ZN9rocsparseL17kernel_correctionILi1024ELi4EfiiEEvT3_T2_PKS2_S4_PKS1_PKT1_21rocsparse_index_base_S4_S4_S6_PS7_SA_S4_S4_S6_SB_SA_SB_PNS_15floating_traitsIS7_E6data_tEPKSE_.num_agpr, 0
	.set _ZN9rocsparseL17kernel_correctionILi1024ELi4EfiiEEvT3_T2_PKS2_S4_PKS1_PKT1_21rocsparse_index_base_S4_S4_S6_PS7_SA_S4_S4_S6_SB_SA_SB_PNS_15floating_traitsIS7_E6data_tEPKSE_.numbered_sgpr, 51
	.set _ZN9rocsparseL17kernel_correctionILi1024ELi4EfiiEEvT3_T2_PKS2_S4_PKS1_PKT1_21rocsparse_index_base_S4_S4_S6_PS7_SA_S4_S4_S6_SB_SA_SB_PNS_15floating_traitsIS7_E6data_tEPKSE_.num_named_barrier, 0
	.set _ZN9rocsparseL17kernel_correctionILi1024ELi4EfiiEEvT3_T2_PKS2_S4_PKS1_PKT1_21rocsparse_index_base_S4_S4_S6_PS7_SA_S4_S4_S6_SB_SA_SB_PNS_15floating_traitsIS7_E6data_tEPKSE_.private_seg_size, 0
	.set _ZN9rocsparseL17kernel_correctionILi1024ELi4EfiiEEvT3_T2_PKS2_S4_PKS1_PKT1_21rocsparse_index_base_S4_S4_S6_PS7_SA_S4_S4_S6_SB_SA_SB_PNS_15floating_traitsIS7_E6data_tEPKSE_.uses_vcc, 1
	.set _ZN9rocsparseL17kernel_correctionILi1024ELi4EfiiEEvT3_T2_PKS2_S4_PKS1_PKT1_21rocsparse_index_base_S4_S4_S6_PS7_SA_S4_S4_S6_SB_SA_SB_PNS_15floating_traitsIS7_E6data_tEPKSE_.uses_flat_scratch, 0
	.set _ZN9rocsparseL17kernel_correctionILi1024ELi4EfiiEEvT3_T2_PKS2_S4_PKS1_PKT1_21rocsparse_index_base_S4_S4_S6_PS7_SA_S4_S4_S6_SB_SA_SB_PNS_15floating_traitsIS7_E6data_tEPKSE_.has_dyn_sized_stack, 0
	.set _ZN9rocsparseL17kernel_correctionILi1024ELi4EfiiEEvT3_T2_PKS2_S4_PKS1_PKT1_21rocsparse_index_base_S4_S4_S6_PS7_SA_S4_S4_S6_SB_SA_SB_PNS_15floating_traitsIS7_E6data_tEPKSE_.has_recursion, 0
	.set _ZN9rocsparseL17kernel_correctionILi1024ELi4EfiiEEvT3_T2_PKS2_S4_PKS1_PKT1_21rocsparse_index_base_S4_S4_S6_PS7_SA_S4_S4_S6_SB_SA_SB_PNS_15floating_traitsIS7_E6data_tEPKSE_.has_indirect_call, 0
	.section	.AMDGPU.csdata,"",@progbits
; Kernel info:
; codeLenInByte = 3132
; TotalNumSgprs: 53
; NumVgprs: 38
; ScratchSize: 0
; MemoryBound: 0
; FloatMode: 240
; IeeeMode: 1
; LDSByteSize: 1024 bytes/workgroup (compile time only)
; SGPRBlocks: 0
; VGPRBlocks: 4
; NumSGPRsForWavesPerEU: 53
; NumVGPRsForWavesPerEU: 38
; Occupancy: 16
; WaveLimiterHint : 1
; COMPUTE_PGM_RSRC2:SCRATCH_EN: 0
; COMPUTE_PGM_RSRC2:USER_SGPR: 6
; COMPUTE_PGM_RSRC2:TRAP_HANDLER: 0
; COMPUTE_PGM_RSRC2:TGID_X_EN: 1
; COMPUTE_PGM_RSRC2:TGID_Y_EN: 0
; COMPUTE_PGM_RSRC2:TGID_Z_EN: 0
; COMPUTE_PGM_RSRC2:TIDIG_COMP_CNT: 0
	.section	.text._ZN9rocsparseL17kernel_correctionILi1024ELi8EfiiEEvT3_T2_PKS2_S4_PKS1_PKT1_21rocsparse_index_base_S4_S4_S6_PS7_SA_S4_S4_S6_SB_SA_SB_PNS_15floating_traitsIS7_E6data_tEPKSE_,"axG",@progbits,_ZN9rocsparseL17kernel_correctionILi1024ELi8EfiiEEvT3_T2_PKS2_S4_PKS1_PKT1_21rocsparse_index_base_S4_S4_S6_PS7_SA_S4_S4_S6_SB_SA_SB_PNS_15floating_traitsIS7_E6data_tEPKSE_,comdat
	.globl	_ZN9rocsparseL17kernel_correctionILi1024ELi8EfiiEEvT3_T2_PKS2_S4_PKS1_PKT1_21rocsparse_index_base_S4_S4_S6_PS7_SA_S4_S4_S6_SB_SA_SB_PNS_15floating_traitsIS7_E6data_tEPKSE_ ; -- Begin function _ZN9rocsparseL17kernel_correctionILi1024ELi8EfiiEEvT3_T2_PKS2_S4_PKS1_PKT1_21rocsparse_index_base_S4_S4_S6_PS7_SA_S4_S4_S6_SB_SA_SB_PNS_15floating_traitsIS7_E6data_tEPKSE_
	.p2align	8
	.type	_ZN9rocsparseL17kernel_correctionILi1024ELi8EfiiEEvT3_T2_PKS2_S4_PKS1_PKT1_21rocsparse_index_base_S4_S4_S6_PS7_SA_S4_S4_S6_SB_SA_SB_PNS_15floating_traitsIS7_E6data_tEPKSE_,@function
_ZN9rocsparseL17kernel_correctionILi1024ELi8EfiiEEvT3_T2_PKS2_S4_PKS1_PKT1_21rocsparse_index_base_S4_S4_S6_PS7_SA_S4_S4_S6_SB_SA_SB_PNS_15floating_traitsIS7_E6data_tEPKSE_: ; @_ZN9rocsparseL17kernel_correctionILi1024ELi8EfiiEEvT3_T2_PKS2_S4_PKS1_PKT1_21rocsparse_index_base_S4_S4_S6_PS7_SA_S4_S4_S6_SB_SA_SB_PNS_15floating_traitsIS7_E6data_tEPKSE_
; %bb.0:
	s_load_dword s33, s[4:5], 0x0
	v_lshrrev_b32_e32 v19, 3, v0
	s_lshl_b32 s35, s6, 10
	v_and_b32_e32 v20, 7, v0
	v_mov_b32_e32 v21, 0
	s_mov_b32 s3, exec_lo
	v_or_b32_e32 v1, s35, v19
	s_waitcnt lgkmcnt(0)
	v_cmpx_gt_i32_e64 s33, v1
	s_cbranch_execz .LBB10_64
; %bb.1:
	v_mov_b32_e32 v21, 0
	s_addk_i32 s35, 0x400
	s_mov_b32 s34, exec_lo
	v_cmpx_gt_u32_e64 s35, v1
	s_cbranch_execz .LBB10_63
; %bb.2:
	s_clause 0x6
	s_load_dword s36, s[4:5], 0x28
	s_load_dwordx8 s[8:15], s[4:5], 0x58
	s_load_dwordx8 s[16:23], s[4:5], 0x30
	;; [unrolled: 1-line block ×3, first 2 shown]
	s_load_dword s37, s[4:5], 0x50
	s_load_dwordx2 s[6:7], s[4:5], 0x80
	s_load_dword s38, s[4:5], 0x78
	v_mov_b32_e32 v3, 0
	v_mov_b32_e32 v21, 0
	s_mov_b32 s39, 0
	s_waitcnt lgkmcnt(0)
	v_subrev_nc_u32_e32 v22, s36, v20
	s_branch .LBB10_6
.LBB10_3:                               ;   in Loop: Header=BB10_6 Depth=1
	s_or_b32 exec_lo, exec_lo, s42
.LBB10_4:                               ;   in Loop: Header=BB10_6 Depth=1
	s_or_b32 exec_lo, exec_lo, s41
.LBB10_5:                               ;   in Loop: Header=BB10_6 Depth=1
	s_or_b32 exec_lo, exec_lo, s40
	v_add_nc_u32_e32 v1, 0x80, v1
	v_cmp_le_u32_e32 vcc_lo, s35, v1
	s_or_b32 s39, vcc_lo, s39
	s_andn2_b32 exec_lo, exec_lo, s39
	s_cbranch_execz .LBB10_62
.LBB10_6:                               ; =>This Loop Header: Depth=1
                                        ;     Child Loop BB10_10 Depth 2
                                        ;       Child Loop BB10_14 Depth 3
                                        ;       Child Loop BB10_27 Depth 3
	;; [unrolled: 1-line block ×5, first 2 shown]
	s_mov_b32 s40, exec_lo
	v_cmpx_gt_i32_e64 s33, v1
	s_cbranch_execz .LBB10_5
; %bb.7:                                ;   in Loop: Header=BB10_6 Depth=1
	v_ashrrev_i32_e32 v2, 31, v1
	s_mov_b32 s41, exec_lo
	v_lshlrev_b64 v[5:6], 2, v[1:2]
	v_add_co_u32 v7, vcc_lo, s24, v5
	v_add_co_ci_u32_e64 v8, null, s25, v6, vcc_lo
	v_add_co_u32 v9, vcc_lo, s26, v5
	v_add_co_ci_u32_e64 v10, null, s27, v6, vcc_lo
	global_load_dword v2, v[7:8], off
	global_load_dword v7, v[9:10], off
	s_waitcnt vmcnt(1)
	v_add_nc_u32_e32 v4, v22, v2
	s_waitcnt vmcnt(0)
	v_subrev_nc_u32_e32 v23, s36, v7
	v_cmpx_lt_i32_e64 v4, v23
	s_cbranch_execz .LBB10_4
; %bb.8:                                ;   in Loop: Header=BB10_6 Depth=1
	v_add_co_u32 v7, vcc_lo, s16, v5
	v_add_co_ci_u32_e64 v8, null, s17, v6, vcc_lo
	v_add_co_u32 v5, vcc_lo, s18, v5
	v_add_co_ci_u32_e64 v6, null, s19, v6, vcc_lo
	global_load_dword v2, v[7:8], off
	s_mov_b32 s42, 0
	global_load_dword v5, v[5:6], off
	s_waitcnt vmcnt(1)
	v_subrev_nc_u32_e32 v6, s37, v2
	s_waitcnt vmcnt(0)
	v_sub_nc_u32_e32 v24, v5, v2
	v_ashrrev_i32_e32 v7, 31, v6
	v_cmp_lt_i32_e64 s0, 0, v24
	v_lshlrev_b64 v[7:8], 2, v[6:7]
	v_add_co_u32 v25, vcc_lo, s20, v7
	v_add_co_ci_u32_e64 v26, null, s21, v8, vcc_lo
	v_add_co_u32 v27, vcc_lo, s22, v7
	v_add_co_ci_u32_e64 v28, null, s23, v8, vcc_lo
	s_branch .LBB10_10
.LBB10_9:                               ;   in Loop: Header=BB10_10 Depth=2
	s_or_b32 exec_lo, exec_lo, s2
	v_sub_f32_e32 v2, v15, v5
	v_add_nc_u32_e32 v4, 8, v4
	v_cmp_nlg_f32_e64 s1, 0x7f800000, |v2|
	v_cmp_gt_f32_e64 s2, v21, |v2|
	v_cmp_ge_i32_e32 vcc_lo, v4, v23
	s_or_b32 s1, s1, s2
	s_or_b32 s42, vcc_lo, s42
	v_cndmask_b32_e64 v21, |v2|, v21, s1
	s_andn2_b32 exec_lo, exec_lo, s42
	s_cbranch_execz .LBB10_3
.LBB10_10:                              ;   Parent Loop BB10_6 Depth=1
                                        ; =>  This Loop Header: Depth=2
                                        ;       Child Loop BB10_14 Depth 3
                                        ;       Child Loop BB10_27 Depth 3
	;; [unrolled: 1-line block ×5, first 2 shown]
	v_ashrrev_i32_e32 v5, 31, v4
	v_lshlrev_b64 v[13:14], 2, v[4:5]
	v_mov_b32_e32 v5, 0
	v_add_co_u32 v7, vcc_lo, s28, v13
	v_add_co_ci_u32_e64 v8, null, s29, v14, vcc_lo
	global_load_dword v2, v[7:8], off
	s_waitcnt vmcnt(0)
	v_subrev_nc_u32_e32 v7, s36, v2
	v_ashrrev_i32_e32 v8, 31, v7
	v_lshlrev_b64 v[11:12], 2, v[7:8]
	v_add_co_u32 v8, vcc_lo, s8, v11
	v_add_co_ci_u32_e64 v9, null, s9, v12, vcc_lo
	v_add_co_u32 v15, vcc_lo, s10, v11
	v_add_co_ci_u32_e64 v16, null, s11, v12, vcc_lo
	global_load_dword v2, v[8:9], off
	global_load_dword v10, v[15:16], off
	v_mov_b32_e32 v9, 0
	s_waitcnt vmcnt(1)
	v_subrev_nc_u32_e32 v8, s38, v2
	s_waitcnt vmcnt(0)
	v_sub_nc_u32_e32 v29, v10, v2
	v_mov_b32_e32 v2, v9
	s_and_saveexec_b32 s2, s0
	s_cbranch_execz .LBB10_18
; %bb.11:                               ;   in Loop: Header=BB10_10 Depth=2
	v_ashrrev_i32_e32 v9, 31, v8
	v_mov_b32_e32 v5, 0
	v_mov_b32_e32 v2, 0
	s_mov_b32 s43, 0
                                        ; implicit-def: $sgpr44
	v_lshlrev_b64 v[9:10], 2, v[8:9]
	v_add_co_u32 v30, vcc_lo, s12, v9
	v_add_co_ci_u32_e64 v31, null, s13, v10, vcc_lo
	v_add_co_u32 v32, vcc_lo, s14, v9
	v_add_co_ci_u32_e64 v33, null, s15, v10, vcc_lo
	v_mov_b32_e32 v9, 0
	s_branch .LBB10_14
.LBB10_12:                              ;   in Loop: Header=BB10_14 Depth=3
	s_or_b32 exec_lo, exec_lo, s1
	v_cmp_le_i32_e32 vcc_lo, v10, v34
	v_cmp_ge_i32_e64 s1, v10, v34
	v_add_co_ci_u32_e64 v2, null, 0, v2, vcc_lo
	v_add_co_ci_u32_e64 v9, null, 0, v9, s1
	s_andn2_b32 s1, s44, exec_lo
	v_cmp_ge_i32_e32 vcc_lo, v2, v24
	s_and_b32 s44, vcc_lo, exec_lo
	s_or_b32 s44, s1, s44
.LBB10_13:                              ;   in Loop: Header=BB10_14 Depth=3
	s_or_b32 exec_lo, exec_lo, s45
	s_and_b32 s1, exec_lo, s44
	s_or_b32 s43, s1, s43
	s_andn2_b32 exec_lo, exec_lo, s43
	s_cbranch_execz .LBB10_17
.LBB10_14:                              ;   Parent Loop BB10_6 Depth=1
                                        ;     Parent Loop BB10_10 Depth=2
                                        ; =>    This Inner Loop Header: Depth=3
	s_or_b32 s44, s44, exec_lo
	s_mov_b32 s45, exec_lo
	v_cmpx_lt_i32_e64 v9, v29
	s_cbranch_execz .LBB10_13
; %bb.15:                               ;   in Loop: Header=BB10_14 Depth=3
	v_mov_b32_e32 v10, v3
	v_lshlrev_b64 v[17:18], 2, v[2:3]
	s_mov_b32 s1, exec_lo
	v_lshlrev_b64 v[15:16], 2, v[9:10]
	v_add_co_u32 v34, vcc_lo, v25, v17
	v_add_co_ci_u32_e64 v35, null, v26, v18, vcc_lo
	v_add_co_u32 v36, vcc_lo, v30, v15
	v_add_co_ci_u32_e64 v37, null, v31, v16, vcc_lo
	global_load_dword v10, v[34:35], off
	global_load_dword v34, v[36:37], off
	s_waitcnt vmcnt(1)
	v_subrev_nc_u32_e32 v10, s37, v10
	s_waitcnt vmcnt(0)
	v_subrev_nc_u32_e32 v34, s38, v34
	v_cmpx_eq_u32_e64 v10, v34
	s_cbranch_execz .LBB10_12
; %bb.16:                               ;   in Loop: Header=BB10_14 Depth=3
	v_add_co_u32 v17, vcc_lo, v27, v17
	v_add_co_ci_u32_e64 v18, null, v28, v18, vcc_lo
	v_add_co_u32 v15, vcc_lo, v32, v15
	v_add_co_ci_u32_e64 v16, null, v33, v16, vcc_lo
	global_load_dword v17, v[17:18], off
	global_load_dword v15, v[15:16], off
	s_waitcnt vmcnt(0)
	v_fmac_f32_e32 v5, v17, v15
	s_branch .LBB10_12
.LBB10_17:                              ;   in Loop: Header=BB10_10 Depth=2
	s_or_b32 exec_lo, exec_lo, s43
.LBB10_18:                              ;   in Loop: Header=BB10_10 Depth=2
	s_or_b32 exec_lo, exec_lo, s2
	v_add_co_u32 v13, vcc_lo, s30, v13
	v_add_co_ci_u32_e64 v14, null, s31, v14, vcc_lo
	v_cmp_le_i32_e64 s1, v1, v7
	s_mov_b32 s2, exec_lo
	global_load_dword v15, v[13:14], off
	s_waitcnt vmcnt(0)
	v_sub_f32_e32 v16, v15, v5
	v_cmpx_gt_i32_e64 v1, v7
	s_cbranch_execz .LBB10_20
; %bb.19:                               ;   in Loop: Header=BB10_10 Depth=2
	v_add_co_u32 v13, vcc_lo, s6, v11
	v_add_co_ci_u32_e64 v14, null, s7, v12, vcc_lo
	global_load_dword v10, v[13:14], off
	s_waitcnt vmcnt(0)
	v_div_scale_f32 v13, null, v10, v10, v16
	v_rcp_f32_e32 v14, v13
	v_fma_f32 v17, -v13, v14, 1.0
	v_fmac_f32_e32 v14, v17, v14
	v_div_scale_f32 v17, vcc_lo, v16, v10, v16
	v_mul_f32_e32 v18, v17, v14
	v_fma_f32 v30, -v13, v18, v17
	v_fmac_f32_e32 v18, v30, v14
	v_fma_f32 v13, -v13, v18, v17
	v_div_fmas_f32 v13, v13, v14, v18
	v_div_fixup_f32 v16, v13, v10, v16
.LBB10_20:                              ;   in Loop: Header=BB10_10 Depth=2
	s_or_b32 exec_lo, exec_lo, s2
	s_mov_b32 s43, exec_lo
	v_cmp_lt_i32_e32 vcc_lo, v9, v29
	v_cmpx_ge_i32_e64 v9, v29
	s_xor_b32 s43, exec_lo, s43
	s_cbranch_execnz .LBB10_24
; %bb.21:                               ;   in Loop: Header=BB10_10 Depth=2
	s_andn2_saveexec_b32 s43, s43
	s_cbranch_execnz .LBB10_33
.LBB10_22:                              ;   in Loop: Header=BB10_10 Depth=2
	s_or_b32 exec_lo, exec_lo, s43
	s_mov_b32 s43, exec_lo
	v_cmpx_eq_u32_e64 v1, v7
	s_cbranch_execnz .LBB10_40
.LBB10_23:                              ;   in Loop: Header=BB10_10 Depth=2
	s_or_b32 exec_lo, exec_lo, s43
	v_cmp_class_f32_e64 s43, v16, 0x1f8
	s_and_saveexec_b32 s2, s43
	s_cbranch_execz .LBB10_9
	s_branch .LBB10_41
.LBB10_24:                              ;   in Loop: Header=BB10_10 Depth=2
	s_mov_b32 s44, exec_lo
	v_cmpx_lt_i32_e64 v2, v24
	s_cbranch_execz .LBB10_32
; %bb.25:                               ;   in Loop: Header=BB10_10 Depth=2
	v_mov_b32_e32 v10, v2
	s_mov_b32 s45, 0
                                        ; implicit-def: $sgpr46
                                        ; implicit-def: $sgpr48
                                        ; implicit-def: $sgpr47
	s_inst_prefetch 0x1
	s_branch .LBB10_27
	.p2align	6
.LBB10_26:                              ;   in Loop: Header=BB10_27 Depth=3
	s_or_b32 exec_lo, exec_lo, s49
	s_and_b32 s2, exec_lo, s48
	s_or_b32 s45, s2, s45
	s_andn2_b32 s2, s46, exec_lo
	s_and_b32 s46, s47, exec_lo
	s_or_b32 s46, s2, s46
	s_andn2_b32 exec_lo, exec_lo, s45
	s_cbranch_execz .LBB10_29
.LBB10_27:                              ;   Parent Loop BB10_6 Depth=1
                                        ;     Parent Loop BB10_10 Depth=2
                                        ; =>    This Inner Loop Header: Depth=3
	v_add_nc_u32_e32 v13, v6, v10
	s_or_b32 s47, s47, exec_lo
	s_or_b32 s48, s48, exec_lo
	s_mov_b32 s49, exec_lo
	v_ashrrev_i32_e32 v14, 31, v13
	v_lshlrev_b64 v[13:14], 2, v[13:14]
	v_add_co_u32 v17, s2, s20, v13
	v_add_co_ci_u32_e64 v18, null, s21, v14, s2
	global_load_dword v17, v[17:18], off
	s_waitcnt vmcnt(0)
	v_subrev_nc_u32_e32 v17, s37, v17
	v_cmpx_ne_u32_e64 v17, v7
	s_cbranch_execz .LBB10_26
; %bb.28:                               ;   in Loop: Header=BB10_27 Depth=3
	v_add_nc_u32_e32 v10, 1, v10
	s_andn2_b32 s48, s48, exec_lo
	s_andn2_b32 s47, s47, exec_lo
	v_cmp_ge_i32_e64 s2, v10, v24
	s_and_b32 s2, s2, exec_lo
	s_or_b32 s48, s48, s2
	s_branch .LBB10_26
.LBB10_29:                              ;   in Loop: Header=BB10_10 Depth=2
	s_inst_prefetch 0x2
	s_or_b32 exec_lo, exec_lo, s45
	s_and_saveexec_b32 s2, s46
	s_xor_b32 s45, exec_lo, s2
	s_cbranch_execz .LBB10_31
; %bb.30:                               ;   in Loop: Header=BB10_10 Depth=2
	v_add_co_u32 v13, s2, s22, v13
	v_add_co_ci_u32_e64 v14, null, s23, v14, s2
	v_add_co_u32 v17, s2, s6, v11
	v_add_co_ci_u32_e64 v18, null, s7, v12, s2
	global_load_dword v10, v[13:14], off
	global_load_dword v13, v[17:18], off
	s_waitcnt vmcnt(0)
	v_fmac_f32_e32 v5, v10, v13
.LBB10_31:                              ;   in Loop: Header=BB10_10 Depth=2
	s_or_b32 exec_lo, exec_lo, s45
.LBB10_32:                              ;   in Loop: Header=BB10_10 Depth=2
	s_or_b32 exec_lo, exec_lo, s44
	s_andn2_saveexec_b32 s43, s43
	s_cbranch_execz .LBB10_22
.LBB10_33:                              ;   in Loop: Header=BB10_10 Depth=2
	v_mov_b32_e32 v10, v9
	s_mov_b32 s44, 0
                                        ; implicit-def: $sgpr45
                                        ; implicit-def: $sgpr47
                                        ; implicit-def: $sgpr46
	s_inst_prefetch 0x1
	s_branch .LBB10_35
	.p2align	6
.LBB10_34:                              ;   in Loop: Header=BB10_35 Depth=3
	s_or_b32 exec_lo, exec_lo, s48
	s_and_b32 s2, exec_lo, s47
	s_or_b32 s44, s2, s44
	s_andn2_b32 s2, s45, exec_lo
	s_and_b32 s45, s46, exec_lo
	s_or_b32 s45, s2, s45
	s_andn2_b32 exec_lo, exec_lo, s44
	s_cbranch_execz .LBB10_37
.LBB10_35:                              ;   Parent Loop BB10_6 Depth=1
                                        ;     Parent Loop BB10_10 Depth=2
                                        ; =>    This Inner Loop Header: Depth=3
	v_add_nc_u32_e32 v13, v8, v10
	s_or_b32 s46, s46, exec_lo
	s_or_b32 s47, s47, exec_lo
	s_mov_b32 s48, exec_lo
	v_ashrrev_i32_e32 v14, 31, v13
	v_lshlrev_b64 v[13:14], 2, v[13:14]
	v_add_co_u32 v17, s2, s12, v13
	v_add_co_ci_u32_e64 v18, null, s13, v14, s2
	global_load_dword v17, v[17:18], off
	s_waitcnt vmcnt(0)
	v_subrev_nc_u32_e32 v17, s38, v17
	v_cmpx_ne_u32_e64 v17, v1
	s_cbranch_execz .LBB10_34
; %bb.36:                               ;   in Loop: Header=BB10_35 Depth=3
	v_add_nc_u32_e32 v10, 1, v10
	s_andn2_b32 s47, s47, exec_lo
	s_andn2_b32 s46, s46, exec_lo
	v_cmp_ge_i32_e64 s2, v10, v29
	s_and_b32 s2, s2, exec_lo
	s_or_b32 s47, s47, s2
	s_branch .LBB10_34
.LBB10_37:                              ;   in Loop: Header=BB10_10 Depth=2
	s_inst_prefetch 0x2
	s_or_b32 exec_lo, exec_lo, s44
	s_and_saveexec_b32 s2, s45
	s_xor_b32 s44, exec_lo, s2
	s_cbranch_execz .LBB10_39
; %bb.38:                               ;   in Loop: Header=BB10_10 Depth=2
	v_add_co_u32 v13, s2, s14, v13
	v_add_co_ci_u32_e64 v14, null, s15, v14, s2
	global_load_dword v10, v[13:14], off
	s_waitcnt vmcnt(0)
	v_add_f32_e32 v5, v5, v10
.LBB10_39:                              ;   in Loop: Header=BB10_10 Depth=2
	s_or_b32 exec_lo, exec_lo, s44
	s_or_b32 exec_lo, exec_lo, s43
	s_mov_b32 s43, exec_lo
	v_cmpx_eq_u32_e64 v1, v7
	s_cbranch_execz .LBB10_23
.LBB10_40:                              ;   in Loop: Header=BB10_10 Depth=2
	v_add_co_u32 v13, s2, s6, v11
	v_add_co_ci_u32_e64 v14, null, s7, v12, s2
	global_load_dword v10, v[13:14], off
	s_waitcnt vmcnt(0)
	v_add_f32_e32 v5, v5, v10
	s_or_b32 exec_lo, exec_lo, s43
	v_cmp_class_f32_e64 s43, v16, 0x1f8
	s_and_saveexec_b32 s2, s43
	s_cbranch_execz .LBB10_9
.LBB10_41:                              ;   in Loop: Header=BB10_10 Depth=2
	s_and_saveexec_b32 s43, s1
	s_xor_b32 s43, exec_lo, s43
	s_cbranch_execz .LBB10_54
; %bb.42:                               ;   in Loop: Header=BB10_10 Depth=2
	s_mov_b32 s44, exec_lo
	v_cmpx_ge_i32_e64 v1, v7
	s_xor_b32 s44, exec_lo, s44
	s_cbranch_execz .LBB10_44
; %bb.43:                               ;   in Loop: Header=BB10_10 Depth=2
	v_add_co_u32 v7, s1, s6, v11
	v_add_co_ci_u32_e64 v8, null, s7, v12, s1
                                        ; implicit-def: $vgpr9
                                        ; implicit-def: $vgpr29
	global_store_dword v[7:8], v16, off
                                        ; implicit-def: $vgpr16
                                        ; implicit-def: $vgpr8
.LBB10_44:                              ;   in Loop: Header=BB10_10 Depth=2
	s_andn2_saveexec_b32 s1, s44
	s_cbranch_execz .LBB10_53
; %bb.45:                               ;   in Loop: Header=BB10_10 Depth=2
	s_and_saveexec_b32 s44, vcc_lo
	s_cbranch_execz .LBB10_52
; %bb.46:                               ;   in Loop: Header=BB10_10 Depth=2
	s_mov_b32 s45, 0
                                        ; implicit-def: $sgpr46
                                        ; implicit-def: $sgpr48
                                        ; implicit-def: $sgpr47
	s_inst_prefetch 0x1
	s_branch .LBB10_48
	.p2align	6
.LBB10_47:                              ;   in Loop: Header=BB10_48 Depth=3
	s_or_b32 exec_lo, exec_lo, s49
	s_and_b32 s49, exec_lo, s48
	s_or_b32 s45, s49, s45
	s_andn2_b32 s46, s46, exec_lo
	s_and_b32 s49, s47, exec_lo
	s_or_b32 s46, s46, s49
	s_andn2_b32 exec_lo, exec_lo, s45
	s_cbranch_execz .LBB10_50
.LBB10_48:                              ;   Parent Loop BB10_6 Depth=1
                                        ;     Parent Loop BB10_10 Depth=2
                                        ; =>    This Inner Loop Header: Depth=3
	v_add_nc_u32_e32 v10, v8, v9
	s_or_b32 s47, s47, exec_lo
	s_or_b32 s48, s48, exec_lo
	s_mov_b32 s49, exec_lo
	v_ashrrev_i32_e32 v11, 31, v10
	v_lshlrev_b64 v[10:11], 2, v[10:11]
	v_add_co_u32 v12, vcc_lo, s12, v10
	v_add_co_ci_u32_e64 v13, null, s13, v11, vcc_lo
	global_load_dword v2, v[12:13], off
	s_waitcnt vmcnt(0)
	v_subrev_nc_u32_e32 v2, s38, v2
	v_cmpx_ne_u32_e64 v2, v1
	s_cbranch_execz .LBB10_47
; %bb.49:                               ;   in Loop: Header=BB10_48 Depth=3
	v_add_nc_u32_e32 v9, 1, v9
	s_andn2_b32 s48, s48, exec_lo
	s_andn2_b32 s47, s47, exec_lo
	v_cmp_ge_i32_e32 vcc_lo, v9, v29
	s_and_b32 s50, vcc_lo, exec_lo
	s_or_b32 s48, s48, s50
	s_branch .LBB10_47
.LBB10_50:                              ;   in Loop: Header=BB10_10 Depth=2
	s_inst_prefetch 0x2
	s_or_b32 exec_lo, exec_lo, s45
	s_and_saveexec_b32 s45, s46
	s_xor_b32 s45, exec_lo, s45
	s_cbranch_execz .LBB10_52
; %bb.51:                               ;   in Loop: Header=BB10_10 Depth=2
	v_add_co_u32 v7, vcc_lo, s14, v10
	v_add_co_ci_u32_e64 v8, null, s15, v11, vcc_lo
	global_store_dword v[7:8], v16, off
.LBB10_52:                              ;   in Loop: Header=BB10_10 Depth=2
	s_or_b32 exec_lo, exec_lo, s44
.LBB10_53:                              ;   in Loop: Header=BB10_10 Depth=2
	s_or_b32 exec_lo, exec_lo, s1
                                        ; implicit-def: $vgpr16
                                        ; implicit-def: $vgpr7_vgpr8
.LBB10_54:                              ;   in Loop: Header=BB10_10 Depth=2
	s_andn2_saveexec_b32 s1, s43
	s_cbranch_execz .LBB10_9
; %bb.55:                               ;   in Loop: Header=BB10_10 Depth=2
	v_cmp_lt_i32_e32 vcc_lo, v2, v24
	s_and_b32 exec_lo, exec_lo, vcc_lo
	s_cbranch_execz .LBB10_9
; %bb.56:                               ;   in Loop: Header=BB10_10 Depth=2
	s_mov_b32 s1, 0
                                        ; implicit-def: $sgpr43
                                        ; implicit-def: $sgpr45
                                        ; implicit-def: $sgpr44
	s_inst_prefetch 0x1
	s_branch .LBB10_58
	.p2align	6
.LBB10_57:                              ;   in Loop: Header=BB10_58 Depth=3
	s_or_b32 exec_lo, exec_lo, s46
	s_and_b32 s46, exec_lo, s45
	s_or_b32 s1, s46, s1
	s_andn2_b32 s43, s43, exec_lo
	s_and_b32 s46, s44, exec_lo
	s_or_b32 s43, s43, s46
	s_andn2_b32 exec_lo, exec_lo, s1
	s_cbranch_execz .LBB10_60
.LBB10_58:                              ;   Parent Loop BB10_6 Depth=1
                                        ;     Parent Loop BB10_10 Depth=2
                                        ; =>    This Inner Loop Header: Depth=3
	v_add_nc_u32_e32 v8, v6, v2
	s_or_b32 s44, s44, exec_lo
	s_or_b32 s45, s45, exec_lo
	s_mov_b32 s46, exec_lo
	v_ashrrev_i32_e32 v9, 31, v8
	v_lshlrev_b64 v[8:9], 2, v[8:9]
	v_add_co_u32 v10, vcc_lo, s20, v8
	v_add_co_ci_u32_e64 v11, null, s21, v9, vcc_lo
	global_load_dword v10, v[10:11], off
	s_waitcnt vmcnt(0)
	v_subrev_nc_u32_e32 v10, s37, v10
	v_cmpx_ne_u32_e64 v10, v7
	s_cbranch_execz .LBB10_57
; %bb.59:                               ;   in Loop: Header=BB10_58 Depth=3
	v_add_nc_u32_e32 v2, 1, v2
	s_andn2_b32 s45, s45, exec_lo
	s_andn2_b32 s44, s44, exec_lo
	v_cmp_ge_i32_e32 vcc_lo, v2, v24
	s_and_b32 s47, vcc_lo, exec_lo
	s_or_b32 s45, s45, s47
	s_branch .LBB10_57
.LBB10_60:                              ;   in Loop: Header=BB10_10 Depth=2
	s_inst_prefetch 0x2
	s_or_b32 exec_lo, exec_lo, s1
	s_and_saveexec_b32 s1, s43
	s_xor_b32 s1, exec_lo, s1
	s_cbranch_execz .LBB10_9
; %bb.61:                               ;   in Loop: Header=BB10_10 Depth=2
	v_add_co_u32 v7, vcc_lo, s22, v8
	v_add_co_ci_u32_e64 v8, null, s23, v9, vcc_lo
	global_store_dword v[7:8], v16, off
	s_branch .LBB10_9
.LBB10_62:
	s_or_b32 exec_lo, exec_lo, s39
.LBB10_63:
	s_or_b32 exec_lo, exec_lo, s34
.LBB10_64:
	s_or_b32 exec_lo, exec_lo, s3
	v_mbcnt_lo_u32_b32 v1, -1, 0
	s_mov_b32 s0, exec_lo
	v_xor_b32_e32 v2, 4, v1
	v_xor_b32_e32 v3, 2, v1
	;; [unrolled: 1-line block ×3, first 2 shown]
	v_cmp_gt_i32_e32 vcc_lo, 32, v2
	v_cndmask_b32_e32 v2, v1, v2, vcc_lo
	v_cmp_gt_i32_e32 vcc_lo, 32, v3
	v_lshlrev_b32_e32 v2, 2, v2
	v_cndmask_b32_e32 v3, v1, v3, vcc_lo
	ds_bpermute_b32 v2, v2, v21
	v_lshlrev_b32_e32 v3, 2, v3
	s_waitcnt lgkmcnt(0)
	v_cmp_lt_f32_e32 vcc_lo, v21, v2
	v_cndmask_b32_e32 v2, v21, v2, vcc_lo
	v_cmp_gt_i32_e32 vcc_lo, 32, v4
	ds_bpermute_b32 v3, v3, v2
	v_cndmask_b32_e32 v4, v1, v4, vcc_lo
	s_waitcnt lgkmcnt(0)
	v_cmp_lt_f32_e32 vcc_lo, v2, v3
	v_cndmask_b32_e32 v1, v2, v3, vcc_lo
	v_lshlrev_b32_e32 v2, 2, v4
	ds_bpermute_b32 v2, v2, v1
	v_cmpx_eq_u32_e32 7, v20
	s_cbranch_execz .LBB10_66
; %bb.65:
	s_waitcnt lgkmcnt(0)
	v_cmp_lt_f32_e32 vcc_lo, v1, v2
	v_lshlrev_b32_e32 v3, 2, v19
	v_cndmask_b32_e32 v1, v1, v2, vcc_lo
	ds_write_b32 v3, v1
.LBB10_66:
	s_or_b32 exec_lo, exec_lo, s0
	v_lshlrev_b32_e32 v1, 2, v0
	s_mov_b32 s0, exec_lo
	s_waitcnt lgkmcnt(0)
	s_waitcnt_vscnt null, 0x0
	s_barrier
	buffer_gl0_inv
	v_cmpx_gt_u32_e32 64, v0
	s_cbranch_execz .LBB10_68
; %bb.67:
	ds_read2st64_b32 v[2:3], v1 offset1:1
	s_waitcnt lgkmcnt(0)
	v_cmp_lt_f32_e32 vcc_lo, v2, v3
	v_cndmask_b32_e32 v2, v2, v3, vcc_lo
	ds_write_b32 v1, v2
.LBB10_68:
	s_or_b32 exec_lo, exec_lo, s0
	s_mov_b32 s0, exec_lo
	s_waitcnt lgkmcnt(0)
	s_barrier
	buffer_gl0_inv
	v_cmpx_gt_u32_e32 32, v0
	s_cbranch_execz .LBB10_70
; %bb.69:
	ds_read2_b32 v[2:3], v1 offset1:32
	s_waitcnt lgkmcnt(0)
	v_cmp_lt_f32_e32 vcc_lo, v2, v3
	v_cndmask_b32_e32 v2, v2, v3, vcc_lo
	ds_write_b32 v1, v2
.LBB10_70:
	s_or_b32 exec_lo, exec_lo, s0
	s_mov_b32 s0, exec_lo
	s_waitcnt lgkmcnt(0)
	s_barrier
	buffer_gl0_inv
	v_cmpx_gt_u32_e32 16, v0
	s_cbranch_execz .LBB10_72
; %bb.71:
	ds_read2_b32 v[2:3], v1 offset1:16
	s_waitcnt lgkmcnt(0)
	v_cmp_lt_f32_e32 vcc_lo, v2, v3
	v_cndmask_b32_e32 v2, v2, v3, vcc_lo
	ds_write_b32 v1, v2
.LBB10_72:
	;; [unrolled: 14-line block ×5, first 2 shown]
	s_or_b32 exec_lo, exec_lo, s0
	v_cmp_eq_u32_e32 vcc_lo, 0, v0
	s_waitcnt lgkmcnt(0)
	s_barrier
	buffer_gl0_inv
	s_and_saveexec_b32 s1, vcc_lo
	s_cbranch_execz .LBB10_80
; %bb.79:
	v_mov_b32_e32 v2, 0
	ds_read_b64 v[0:1], v2
	s_waitcnt lgkmcnt(0)
	v_cmp_lt_f32_e64 s0, v0, v1
	v_cndmask_b32_e64 v0, v0, v1, s0
	ds_write_b32 v2, v0
.LBB10_80:
	s_or_b32 exec_lo, exec_lo, s1
	s_waitcnt lgkmcnt(0)
	s_barrier
	buffer_gl0_inv
	s_and_saveexec_b32 s0, vcc_lo
	s_cbranch_execz .LBB10_84
; %bb.81:
	v_mbcnt_lo_u32_b32 v0, exec_lo, 0
	s_mov_b32 s6, 0
	v_cmp_eq_u32_e32 vcc_lo, 0, v0
	s_and_b32 exec_lo, exec_lo, vcc_lo
	s_cbranch_execz .LBB10_84
; %bb.82:
	s_load_dwordx4 s[0:3], s[4:5], 0x88
	v_mov_b32_e32 v2, 0
	ds_read_b32 v0, v2
	s_waitcnt lgkmcnt(0)
	s_load_dword s2, s[2:3], 0x0
	s_load_dword s3, s[0:1], 0x0
	s_waitcnt lgkmcnt(0)
	v_div_scale_f32 v1, null, s2, s2, v0
	v_rcp_f32_e32 v3, v1
	v_fma_f32 v4, -v1, v3, 1.0
	v_fmac_f32_e32 v3, v4, v3
	v_div_scale_f32 v4, vcc_lo, v0, s2, v0
	v_mul_f32_e32 v5, v4, v3
	v_fma_f32 v6, -v1, v5, v4
	v_fmac_f32_e32 v5, v6, v3
	v_fma_f32 v1, -v1, v5, v4
	v_div_fmas_f32 v1, v1, v3, v5
	v_div_fixup_f32 v0, v1, s2, v0
	v_mov_b32_e32 v1, s3
	v_max_f32_e32 v3, v0, v0
.LBB10_83:                              ; =>This Inner Loop Header: Depth=1
	v_max_f32_e32 v0, v1, v1
	v_max_f32_e32 v0, v0, v3
	global_atomic_cmpswap v0, v2, v[0:1], s[0:1] glc
	s_waitcnt vmcnt(0)
	v_cmp_eq_u32_e32 vcc_lo, v0, v1
	v_mov_b32_e32 v1, v0
	s_or_b32 s6, vcc_lo, s6
	s_andn2_b32 exec_lo, exec_lo, s6
	s_cbranch_execnz .LBB10_83
.LBB10_84:
	s_endpgm
	.section	.rodata,"a",@progbits
	.p2align	6, 0x0
	.amdhsa_kernel _ZN9rocsparseL17kernel_correctionILi1024ELi8EfiiEEvT3_T2_PKS2_S4_PKS1_PKT1_21rocsparse_index_base_S4_S4_S6_PS7_SA_S4_S4_S6_SB_SA_SB_PNS_15floating_traitsIS7_E6data_tEPKSE_
		.amdhsa_group_segment_fixed_size 512
		.amdhsa_private_segment_fixed_size 0
		.amdhsa_kernarg_size 152
		.amdhsa_user_sgpr_count 6
		.amdhsa_user_sgpr_private_segment_buffer 1
		.amdhsa_user_sgpr_dispatch_ptr 0
		.amdhsa_user_sgpr_queue_ptr 0
		.amdhsa_user_sgpr_kernarg_segment_ptr 1
		.amdhsa_user_sgpr_dispatch_id 0
		.amdhsa_user_sgpr_flat_scratch_init 0
		.amdhsa_user_sgpr_private_segment_size 0
		.amdhsa_wavefront_size32 1
		.amdhsa_uses_dynamic_stack 0
		.amdhsa_system_sgpr_private_segment_wavefront_offset 0
		.amdhsa_system_sgpr_workgroup_id_x 1
		.amdhsa_system_sgpr_workgroup_id_y 0
		.amdhsa_system_sgpr_workgroup_id_z 0
		.amdhsa_system_sgpr_workgroup_info 0
		.amdhsa_system_vgpr_workitem_id 0
		.amdhsa_next_free_vgpr 38
		.amdhsa_next_free_sgpr 51
		.amdhsa_reserve_vcc 1
		.amdhsa_reserve_flat_scratch 0
		.amdhsa_float_round_mode_32 0
		.amdhsa_float_round_mode_16_64 0
		.amdhsa_float_denorm_mode_32 3
		.amdhsa_float_denorm_mode_16_64 3
		.amdhsa_dx10_clamp 1
		.amdhsa_ieee_mode 1
		.amdhsa_fp16_overflow 0
		.amdhsa_workgroup_processor_mode 1
		.amdhsa_memory_ordered 1
		.amdhsa_forward_progress 1
		.amdhsa_shared_vgpr_count 0
		.amdhsa_exception_fp_ieee_invalid_op 0
		.amdhsa_exception_fp_denorm_src 0
		.amdhsa_exception_fp_ieee_div_zero 0
		.amdhsa_exception_fp_ieee_overflow 0
		.amdhsa_exception_fp_ieee_underflow 0
		.amdhsa_exception_fp_ieee_inexact 0
		.amdhsa_exception_int_div_zero 0
	.end_amdhsa_kernel
	.section	.text._ZN9rocsparseL17kernel_correctionILi1024ELi8EfiiEEvT3_T2_PKS2_S4_PKS1_PKT1_21rocsparse_index_base_S4_S4_S6_PS7_SA_S4_S4_S6_SB_SA_SB_PNS_15floating_traitsIS7_E6data_tEPKSE_,"axG",@progbits,_ZN9rocsparseL17kernel_correctionILi1024ELi8EfiiEEvT3_T2_PKS2_S4_PKS1_PKT1_21rocsparse_index_base_S4_S4_S6_PS7_SA_S4_S4_S6_SB_SA_SB_PNS_15floating_traitsIS7_E6data_tEPKSE_,comdat
.Lfunc_end10:
	.size	_ZN9rocsparseL17kernel_correctionILi1024ELi8EfiiEEvT3_T2_PKS2_S4_PKS1_PKT1_21rocsparse_index_base_S4_S4_S6_PS7_SA_S4_S4_S6_SB_SA_SB_PNS_15floating_traitsIS7_E6data_tEPKSE_, .Lfunc_end10-_ZN9rocsparseL17kernel_correctionILi1024ELi8EfiiEEvT3_T2_PKS2_S4_PKS1_PKT1_21rocsparse_index_base_S4_S4_S6_PS7_SA_S4_S4_S6_SB_SA_SB_PNS_15floating_traitsIS7_E6data_tEPKSE_
                                        ; -- End function
	.set _ZN9rocsparseL17kernel_correctionILi1024ELi8EfiiEEvT3_T2_PKS2_S4_PKS1_PKT1_21rocsparse_index_base_S4_S4_S6_PS7_SA_S4_S4_S6_SB_SA_SB_PNS_15floating_traitsIS7_E6data_tEPKSE_.num_vgpr, 38
	.set _ZN9rocsparseL17kernel_correctionILi1024ELi8EfiiEEvT3_T2_PKS2_S4_PKS1_PKT1_21rocsparse_index_base_S4_S4_S6_PS7_SA_S4_S4_S6_SB_SA_SB_PNS_15floating_traitsIS7_E6data_tEPKSE_.num_agpr, 0
	.set _ZN9rocsparseL17kernel_correctionILi1024ELi8EfiiEEvT3_T2_PKS2_S4_PKS1_PKT1_21rocsparse_index_base_S4_S4_S6_PS7_SA_S4_S4_S6_SB_SA_SB_PNS_15floating_traitsIS7_E6data_tEPKSE_.numbered_sgpr, 51
	.set _ZN9rocsparseL17kernel_correctionILi1024ELi8EfiiEEvT3_T2_PKS2_S4_PKS1_PKT1_21rocsparse_index_base_S4_S4_S6_PS7_SA_S4_S4_S6_SB_SA_SB_PNS_15floating_traitsIS7_E6data_tEPKSE_.num_named_barrier, 0
	.set _ZN9rocsparseL17kernel_correctionILi1024ELi8EfiiEEvT3_T2_PKS2_S4_PKS1_PKT1_21rocsparse_index_base_S4_S4_S6_PS7_SA_S4_S4_S6_SB_SA_SB_PNS_15floating_traitsIS7_E6data_tEPKSE_.private_seg_size, 0
	.set _ZN9rocsparseL17kernel_correctionILi1024ELi8EfiiEEvT3_T2_PKS2_S4_PKS1_PKT1_21rocsparse_index_base_S4_S4_S6_PS7_SA_S4_S4_S6_SB_SA_SB_PNS_15floating_traitsIS7_E6data_tEPKSE_.uses_vcc, 1
	.set _ZN9rocsparseL17kernel_correctionILi1024ELi8EfiiEEvT3_T2_PKS2_S4_PKS1_PKT1_21rocsparse_index_base_S4_S4_S6_PS7_SA_S4_S4_S6_SB_SA_SB_PNS_15floating_traitsIS7_E6data_tEPKSE_.uses_flat_scratch, 0
	.set _ZN9rocsparseL17kernel_correctionILi1024ELi8EfiiEEvT3_T2_PKS2_S4_PKS1_PKT1_21rocsparse_index_base_S4_S4_S6_PS7_SA_S4_S4_S6_SB_SA_SB_PNS_15floating_traitsIS7_E6data_tEPKSE_.has_dyn_sized_stack, 0
	.set _ZN9rocsparseL17kernel_correctionILi1024ELi8EfiiEEvT3_T2_PKS2_S4_PKS1_PKT1_21rocsparse_index_base_S4_S4_S6_PS7_SA_S4_S4_S6_SB_SA_SB_PNS_15floating_traitsIS7_E6data_tEPKSE_.has_recursion, 0
	.set _ZN9rocsparseL17kernel_correctionILi1024ELi8EfiiEEvT3_T2_PKS2_S4_PKS1_PKT1_21rocsparse_index_base_S4_S4_S6_PS7_SA_S4_S4_S6_SB_SA_SB_PNS_15floating_traitsIS7_E6data_tEPKSE_.has_indirect_call, 0
	.section	.AMDGPU.csdata,"",@progbits
; Kernel info:
; codeLenInByte = 3104
; TotalNumSgprs: 53
; NumVgprs: 38
; ScratchSize: 0
; MemoryBound: 0
; FloatMode: 240
; IeeeMode: 1
; LDSByteSize: 512 bytes/workgroup (compile time only)
; SGPRBlocks: 0
; VGPRBlocks: 4
; NumSGPRsForWavesPerEU: 53
; NumVGPRsForWavesPerEU: 38
; Occupancy: 16
; WaveLimiterHint : 1
; COMPUTE_PGM_RSRC2:SCRATCH_EN: 0
; COMPUTE_PGM_RSRC2:USER_SGPR: 6
; COMPUTE_PGM_RSRC2:TRAP_HANDLER: 0
; COMPUTE_PGM_RSRC2:TGID_X_EN: 1
; COMPUTE_PGM_RSRC2:TGID_Y_EN: 0
; COMPUTE_PGM_RSRC2:TGID_Z_EN: 0
; COMPUTE_PGM_RSRC2:TIDIG_COMP_CNT: 0
	.section	.text._ZN9rocsparseL17kernel_correctionILi1024ELi16EfiiEEvT3_T2_PKS2_S4_PKS1_PKT1_21rocsparse_index_base_S4_S4_S6_PS7_SA_S4_S4_S6_SB_SA_SB_PNS_15floating_traitsIS7_E6data_tEPKSE_,"axG",@progbits,_ZN9rocsparseL17kernel_correctionILi1024ELi16EfiiEEvT3_T2_PKS2_S4_PKS1_PKT1_21rocsparse_index_base_S4_S4_S6_PS7_SA_S4_S4_S6_SB_SA_SB_PNS_15floating_traitsIS7_E6data_tEPKSE_,comdat
	.globl	_ZN9rocsparseL17kernel_correctionILi1024ELi16EfiiEEvT3_T2_PKS2_S4_PKS1_PKT1_21rocsparse_index_base_S4_S4_S6_PS7_SA_S4_S4_S6_SB_SA_SB_PNS_15floating_traitsIS7_E6data_tEPKSE_ ; -- Begin function _ZN9rocsparseL17kernel_correctionILi1024ELi16EfiiEEvT3_T2_PKS2_S4_PKS1_PKT1_21rocsparse_index_base_S4_S4_S6_PS7_SA_S4_S4_S6_SB_SA_SB_PNS_15floating_traitsIS7_E6data_tEPKSE_
	.p2align	8
	.type	_ZN9rocsparseL17kernel_correctionILi1024ELi16EfiiEEvT3_T2_PKS2_S4_PKS1_PKT1_21rocsparse_index_base_S4_S4_S6_PS7_SA_S4_S4_S6_SB_SA_SB_PNS_15floating_traitsIS7_E6data_tEPKSE_,@function
_ZN9rocsparseL17kernel_correctionILi1024ELi16EfiiEEvT3_T2_PKS2_S4_PKS1_PKT1_21rocsparse_index_base_S4_S4_S6_PS7_SA_S4_S4_S6_SB_SA_SB_PNS_15floating_traitsIS7_E6data_tEPKSE_: ; @_ZN9rocsparseL17kernel_correctionILi1024ELi16EfiiEEvT3_T2_PKS2_S4_PKS1_PKT1_21rocsparse_index_base_S4_S4_S6_PS7_SA_S4_S4_S6_SB_SA_SB_PNS_15floating_traitsIS7_E6data_tEPKSE_
; %bb.0:
	s_load_dword s33, s[4:5], 0x0
	v_lshrrev_b32_e32 v19, 4, v0
	s_lshl_b32 s35, s6, 10
	v_and_b32_e32 v20, 15, v0
	v_mov_b32_e32 v21, 0
	s_mov_b32 s3, exec_lo
	v_or_b32_e32 v1, s35, v19
	s_waitcnt lgkmcnt(0)
	v_cmpx_gt_i32_e64 s33, v1
	s_cbranch_execz .LBB11_64
; %bb.1:
	v_mov_b32_e32 v21, 0
	s_addk_i32 s35, 0x400
	s_mov_b32 s34, exec_lo
	v_cmpx_gt_u32_e64 s35, v1
	s_cbranch_execz .LBB11_63
; %bb.2:
	s_clause 0x6
	s_load_dword s36, s[4:5], 0x28
	s_load_dwordx8 s[8:15], s[4:5], 0x58
	s_load_dwordx8 s[16:23], s[4:5], 0x30
	;; [unrolled: 1-line block ×3, first 2 shown]
	s_load_dword s37, s[4:5], 0x50
	s_load_dwordx2 s[6:7], s[4:5], 0x80
	s_load_dword s38, s[4:5], 0x78
	v_mov_b32_e32 v3, 0
	v_mov_b32_e32 v21, 0
	s_mov_b32 s39, 0
	s_waitcnt lgkmcnt(0)
	v_subrev_nc_u32_e32 v22, s36, v20
	s_branch .LBB11_6
.LBB11_3:                               ;   in Loop: Header=BB11_6 Depth=1
	s_or_b32 exec_lo, exec_lo, s42
.LBB11_4:                               ;   in Loop: Header=BB11_6 Depth=1
	s_or_b32 exec_lo, exec_lo, s41
.LBB11_5:                               ;   in Loop: Header=BB11_6 Depth=1
	s_or_b32 exec_lo, exec_lo, s40
	v_add_nc_u32_e32 v1, 64, v1
	v_cmp_le_u32_e32 vcc_lo, s35, v1
	s_or_b32 s39, vcc_lo, s39
	s_andn2_b32 exec_lo, exec_lo, s39
	s_cbranch_execz .LBB11_62
.LBB11_6:                               ; =>This Loop Header: Depth=1
                                        ;     Child Loop BB11_10 Depth 2
                                        ;       Child Loop BB11_14 Depth 3
                                        ;       Child Loop BB11_27 Depth 3
	;; [unrolled: 1-line block ×5, first 2 shown]
	s_mov_b32 s40, exec_lo
	v_cmpx_gt_i32_e64 s33, v1
	s_cbranch_execz .LBB11_5
; %bb.7:                                ;   in Loop: Header=BB11_6 Depth=1
	v_ashrrev_i32_e32 v2, 31, v1
	s_mov_b32 s41, exec_lo
	v_lshlrev_b64 v[5:6], 2, v[1:2]
	v_add_co_u32 v7, vcc_lo, s24, v5
	v_add_co_ci_u32_e64 v8, null, s25, v6, vcc_lo
	v_add_co_u32 v9, vcc_lo, s26, v5
	v_add_co_ci_u32_e64 v10, null, s27, v6, vcc_lo
	global_load_dword v2, v[7:8], off
	global_load_dword v7, v[9:10], off
	s_waitcnt vmcnt(1)
	v_add_nc_u32_e32 v4, v22, v2
	s_waitcnt vmcnt(0)
	v_subrev_nc_u32_e32 v23, s36, v7
	v_cmpx_lt_i32_e64 v4, v23
	s_cbranch_execz .LBB11_4
; %bb.8:                                ;   in Loop: Header=BB11_6 Depth=1
	v_add_co_u32 v7, vcc_lo, s16, v5
	v_add_co_ci_u32_e64 v8, null, s17, v6, vcc_lo
	v_add_co_u32 v5, vcc_lo, s18, v5
	v_add_co_ci_u32_e64 v6, null, s19, v6, vcc_lo
	global_load_dword v2, v[7:8], off
	s_mov_b32 s42, 0
	global_load_dword v5, v[5:6], off
	s_waitcnt vmcnt(1)
	v_subrev_nc_u32_e32 v6, s37, v2
	s_waitcnt vmcnt(0)
	v_sub_nc_u32_e32 v24, v5, v2
	v_ashrrev_i32_e32 v7, 31, v6
	v_cmp_lt_i32_e64 s0, 0, v24
	v_lshlrev_b64 v[7:8], 2, v[6:7]
	v_add_co_u32 v25, vcc_lo, s20, v7
	v_add_co_ci_u32_e64 v26, null, s21, v8, vcc_lo
	v_add_co_u32 v27, vcc_lo, s22, v7
	v_add_co_ci_u32_e64 v28, null, s23, v8, vcc_lo
	s_branch .LBB11_10
.LBB11_9:                               ;   in Loop: Header=BB11_10 Depth=2
	s_or_b32 exec_lo, exec_lo, s2
	v_sub_f32_e32 v2, v15, v5
	v_add_nc_u32_e32 v4, 16, v4
	v_cmp_nlg_f32_e64 s1, 0x7f800000, |v2|
	v_cmp_gt_f32_e64 s2, v21, |v2|
	v_cmp_ge_i32_e32 vcc_lo, v4, v23
	s_or_b32 s1, s1, s2
	s_or_b32 s42, vcc_lo, s42
	v_cndmask_b32_e64 v21, |v2|, v21, s1
	s_andn2_b32 exec_lo, exec_lo, s42
	s_cbranch_execz .LBB11_3
.LBB11_10:                              ;   Parent Loop BB11_6 Depth=1
                                        ; =>  This Loop Header: Depth=2
                                        ;       Child Loop BB11_14 Depth 3
                                        ;       Child Loop BB11_27 Depth 3
	;; [unrolled: 1-line block ×5, first 2 shown]
	v_ashrrev_i32_e32 v5, 31, v4
	v_lshlrev_b64 v[13:14], 2, v[4:5]
	v_mov_b32_e32 v5, 0
	v_add_co_u32 v7, vcc_lo, s28, v13
	v_add_co_ci_u32_e64 v8, null, s29, v14, vcc_lo
	global_load_dword v2, v[7:8], off
	s_waitcnt vmcnt(0)
	v_subrev_nc_u32_e32 v7, s36, v2
	v_ashrrev_i32_e32 v8, 31, v7
	v_lshlrev_b64 v[11:12], 2, v[7:8]
	v_add_co_u32 v8, vcc_lo, s8, v11
	v_add_co_ci_u32_e64 v9, null, s9, v12, vcc_lo
	v_add_co_u32 v15, vcc_lo, s10, v11
	v_add_co_ci_u32_e64 v16, null, s11, v12, vcc_lo
	global_load_dword v2, v[8:9], off
	global_load_dword v10, v[15:16], off
	v_mov_b32_e32 v9, 0
	s_waitcnt vmcnt(1)
	v_subrev_nc_u32_e32 v8, s38, v2
	s_waitcnt vmcnt(0)
	v_sub_nc_u32_e32 v29, v10, v2
	v_mov_b32_e32 v2, v9
	s_and_saveexec_b32 s2, s0
	s_cbranch_execz .LBB11_18
; %bb.11:                               ;   in Loop: Header=BB11_10 Depth=2
	v_ashrrev_i32_e32 v9, 31, v8
	v_mov_b32_e32 v5, 0
	v_mov_b32_e32 v2, 0
	s_mov_b32 s43, 0
                                        ; implicit-def: $sgpr44
	v_lshlrev_b64 v[9:10], 2, v[8:9]
	v_add_co_u32 v30, vcc_lo, s12, v9
	v_add_co_ci_u32_e64 v31, null, s13, v10, vcc_lo
	v_add_co_u32 v32, vcc_lo, s14, v9
	v_add_co_ci_u32_e64 v33, null, s15, v10, vcc_lo
	v_mov_b32_e32 v9, 0
	s_branch .LBB11_14
.LBB11_12:                              ;   in Loop: Header=BB11_14 Depth=3
	s_or_b32 exec_lo, exec_lo, s1
	v_cmp_le_i32_e32 vcc_lo, v10, v34
	v_cmp_ge_i32_e64 s1, v10, v34
	v_add_co_ci_u32_e64 v2, null, 0, v2, vcc_lo
	v_add_co_ci_u32_e64 v9, null, 0, v9, s1
	s_andn2_b32 s1, s44, exec_lo
	v_cmp_ge_i32_e32 vcc_lo, v2, v24
	s_and_b32 s44, vcc_lo, exec_lo
	s_or_b32 s44, s1, s44
.LBB11_13:                              ;   in Loop: Header=BB11_14 Depth=3
	s_or_b32 exec_lo, exec_lo, s45
	s_and_b32 s1, exec_lo, s44
	s_or_b32 s43, s1, s43
	s_andn2_b32 exec_lo, exec_lo, s43
	s_cbranch_execz .LBB11_17
.LBB11_14:                              ;   Parent Loop BB11_6 Depth=1
                                        ;     Parent Loop BB11_10 Depth=2
                                        ; =>    This Inner Loop Header: Depth=3
	s_or_b32 s44, s44, exec_lo
	s_mov_b32 s45, exec_lo
	v_cmpx_lt_i32_e64 v9, v29
	s_cbranch_execz .LBB11_13
; %bb.15:                               ;   in Loop: Header=BB11_14 Depth=3
	v_mov_b32_e32 v10, v3
	v_lshlrev_b64 v[17:18], 2, v[2:3]
	s_mov_b32 s1, exec_lo
	v_lshlrev_b64 v[15:16], 2, v[9:10]
	v_add_co_u32 v34, vcc_lo, v25, v17
	v_add_co_ci_u32_e64 v35, null, v26, v18, vcc_lo
	v_add_co_u32 v36, vcc_lo, v30, v15
	v_add_co_ci_u32_e64 v37, null, v31, v16, vcc_lo
	global_load_dword v10, v[34:35], off
	global_load_dword v34, v[36:37], off
	s_waitcnt vmcnt(1)
	v_subrev_nc_u32_e32 v10, s37, v10
	s_waitcnt vmcnt(0)
	v_subrev_nc_u32_e32 v34, s38, v34
	v_cmpx_eq_u32_e64 v10, v34
	s_cbranch_execz .LBB11_12
; %bb.16:                               ;   in Loop: Header=BB11_14 Depth=3
	v_add_co_u32 v17, vcc_lo, v27, v17
	v_add_co_ci_u32_e64 v18, null, v28, v18, vcc_lo
	v_add_co_u32 v15, vcc_lo, v32, v15
	v_add_co_ci_u32_e64 v16, null, v33, v16, vcc_lo
	global_load_dword v17, v[17:18], off
	global_load_dword v15, v[15:16], off
	s_waitcnt vmcnt(0)
	v_fmac_f32_e32 v5, v17, v15
	s_branch .LBB11_12
.LBB11_17:                              ;   in Loop: Header=BB11_10 Depth=2
	s_or_b32 exec_lo, exec_lo, s43
.LBB11_18:                              ;   in Loop: Header=BB11_10 Depth=2
	s_or_b32 exec_lo, exec_lo, s2
	v_add_co_u32 v13, vcc_lo, s30, v13
	v_add_co_ci_u32_e64 v14, null, s31, v14, vcc_lo
	v_cmp_le_i32_e64 s1, v1, v7
	s_mov_b32 s2, exec_lo
	global_load_dword v15, v[13:14], off
	s_waitcnt vmcnt(0)
	v_sub_f32_e32 v16, v15, v5
	v_cmpx_gt_i32_e64 v1, v7
	s_cbranch_execz .LBB11_20
; %bb.19:                               ;   in Loop: Header=BB11_10 Depth=2
	v_add_co_u32 v13, vcc_lo, s6, v11
	v_add_co_ci_u32_e64 v14, null, s7, v12, vcc_lo
	global_load_dword v10, v[13:14], off
	s_waitcnt vmcnt(0)
	v_div_scale_f32 v13, null, v10, v10, v16
	v_rcp_f32_e32 v14, v13
	v_fma_f32 v17, -v13, v14, 1.0
	v_fmac_f32_e32 v14, v17, v14
	v_div_scale_f32 v17, vcc_lo, v16, v10, v16
	v_mul_f32_e32 v18, v17, v14
	v_fma_f32 v30, -v13, v18, v17
	v_fmac_f32_e32 v18, v30, v14
	v_fma_f32 v13, -v13, v18, v17
	v_div_fmas_f32 v13, v13, v14, v18
	v_div_fixup_f32 v16, v13, v10, v16
.LBB11_20:                              ;   in Loop: Header=BB11_10 Depth=2
	s_or_b32 exec_lo, exec_lo, s2
	s_mov_b32 s43, exec_lo
	v_cmp_lt_i32_e32 vcc_lo, v9, v29
	v_cmpx_ge_i32_e64 v9, v29
	s_xor_b32 s43, exec_lo, s43
	s_cbranch_execnz .LBB11_24
; %bb.21:                               ;   in Loop: Header=BB11_10 Depth=2
	s_andn2_saveexec_b32 s43, s43
	s_cbranch_execnz .LBB11_33
.LBB11_22:                              ;   in Loop: Header=BB11_10 Depth=2
	s_or_b32 exec_lo, exec_lo, s43
	s_mov_b32 s43, exec_lo
	v_cmpx_eq_u32_e64 v1, v7
	s_cbranch_execnz .LBB11_40
.LBB11_23:                              ;   in Loop: Header=BB11_10 Depth=2
	s_or_b32 exec_lo, exec_lo, s43
	v_cmp_class_f32_e64 s43, v16, 0x1f8
	s_and_saveexec_b32 s2, s43
	s_cbranch_execz .LBB11_9
	s_branch .LBB11_41
.LBB11_24:                              ;   in Loop: Header=BB11_10 Depth=2
	s_mov_b32 s44, exec_lo
	v_cmpx_lt_i32_e64 v2, v24
	s_cbranch_execz .LBB11_32
; %bb.25:                               ;   in Loop: Header=BB11_10 Depth=2
	v_mov_b32_e32 v10, v2
	s_mov_b32 s45, 0
                                        ; implicit-def: $sgpr46
                                        ; implicit-def: $sgpr48
                                        ; implicit-def: $sgpr47
	s_inst_prefetch 0x1
	s_branch .LBB11_27
	.p2align	6
.LBB11_26:                              ;   in Loop: Header=BB11_27 Depth=3
	s_or_b32 exec_lo, exec_lo, s49
	s_and_b32 s2, exec_lo, s48
	s_or_b32 s45, s2, s45
	s_andn2_b32 s2, s46, exec_lo
	s_and_b32 s46, s47, exec_lo
	s_or_b32 s46, s2, s46
	s_andn2_b32 exec_lo, exec_lo, s45
	s_cbranch_execz .LBB11_29
.LBB11_27:                              ;   Parent Loop BB11_6 Depth=1
                                        ;     Parent Loop BB11_10 Depth=2
                                        ; =>    This Inner Loop Header: Depth=3
	v_add_nc_u32_e32 v13, v6, v10
	s_or_b32 s47, s47, exec_lo
	s_or_b32 s48, s48, exec_lo
	s_mov_b32 s49, exec_lo
	v_ashrrev_i32_e32 v14, 31, v13
	v_lshlrev_b64 v[13:14], 2, v[13:14]
	v_add_co_u32 v17, s2, s20, v13
	v_add_co_ci_u32_e64 v18, null, s21, v14, s2
	global_load_dword v17, v[17:18], off
	s_waitcnt vmcnt(0)
	v_subrev_nc_u32_e32 v17, s37, v17
	v_cmpx_ne_u32_e64 v17, v7
	s_cbranch_execz .LBB11_26
; %bb.28:                               ;   in Loop: Header=BB11_27 Depth=3
	v_add_nc_u32_e32 v10, 1, v10
	s_andn2_b32 s48, s48, exec_lo
	s_andn2_b32 s47, s47, exec_lo
	v_cmp_ge_i32_e64 s2, v10, v24
	s_and_b32 s2, s2, exec_lo
	s_or_b32 s48, s48, s2
	s_branch .LBB11_26
.LBB11_29:                              ;   in Loop: Header=BB11_10 Depth=2
	s_inst_prefetch 0x2
	s_or_b32 exec_lo, exec_lo, s45
	s_and_saveexec_b32 s2, s46
	s_xor_b32 s45, exec_lo, s2
	s_cbranch_execz .LBB11_31
; %bb.30:                               ;   in Loop: Header=BB11_10 Depth=2
	v_add_co_u32 v13, s2, s22, v13
	v_add_co_ci_u32_e64 v14, null, s23, v14, s2
	v_add_co_u32 v17, s2, s6, v11
	v_add_co_ci_u32_e64 v18, null, s7, v12, s2
	global_load_dword v10, v[13:14], off
	global_load_dword v13, v[17:18], off
	s_waitcnt vmcnt(0)
	v_fmac_f32_e32 v5, v10, v13
.LBB11_31:                              ;   in Loop: Header=BB11_10 Depth=2
	s_or_b32 exec_lo, exec_lo, s45
.LBB11_32:                              ;   in Loop: Header=BB11_10 Depth=2
	s_or_b32 exec_lo, exec_lo, s44
	s_andn2_saveexec_b32 s43, s43
	s_cbranch_execz .LBB11_22
.LBB11_33:                              ;   in Loop: Header=BB11_10 Depth=2
	v_mov_b32_e32 v10, v9
	s_mov_b32 s44, 0
                                        ; implicit-def: $sgpr45
                                        ; implicit-def: $sgpr47
                                        ; implicit-def: $sgpr46
	s_inst_prefetch 0x1
	s_branch .LBB11_35
	.p2align	6
.LBB11_34:                              ;   in Loop: Header=BB11_35 Depth=3
	s_or_b32 exec_lo, exec_lo, s48
	s_and_b32 s2, exec_lo, s47
	s_or_b32 s44, s2, s44
	s_andn2_b32 s2, s45, exec_lo
	s_and_b32 s45, s46, exec_lo
	s_or_b32 s45, s2, s45
	s_andn2_b32 exec_lo, exec_lo, s44
	s_cbranch_execz .LBB11_37
.LBB11_35:                              ;   Parent Loop BB11_6 Depth=1
                                        ;     Parent Loop BB11_10 Depth=2
                                        ; =>    This Inner Loop Header: Depth=3
	v_add_nc_u32_e32 v13, v8, v10
	s_or_b32 s46, s46, exec_lo
	s_or_b32 s47, s47, exec_lo
	s_mov_b32 s48, exec_lo
	v_ashrrev_i32_e32 v14, 31, v13
	v_lshlrev_b64 v[13:14], 2, v[13:14]
	v_add_co_u32 v17, s2, s12, v13
	v_add_co_ci_u32_e64 v18, null, s13, v14, s2
	global_load_dword v17, v[17:18], off
	s_waitcnt vmcnt(0)
	v_subrev_nc_u32_e32 v17, s38, v17
	v_cmpx_ne_u32_e64 v17, v1
	s_cbranch_execz .LBB11_34
; %bb.36:                               ;   in Loop: Header=BB11_35 Depth=3
	v_add_nc_u32_e32 v10, 1, v10
	s_andn2_b32 s47, s47, exec_lo
	s_andn2_b32 s46, s46, exec_lo
	v_cmp_ge_i32_e64 s2, v10, v29
	s_and_b32 s2, s2, exec_lo
	s_or_b32 s47, s47, s2
	s_branch .LBB11_34
.LBB11_37:                              ;   in Loop: Header=BB11_10 Depth=2
	s_inst_prefetch 0x2
	s_or_b32 exec_lo, exec_lo, s44
	s_and_saveexec_b32 s2, s45
	s_xor_b32 s44, exec_lo, s2
	s_cbranch_execz .LBB11_39
; %bb.38:                               ;   in Loop: Header=BB11_10 Depth=2
	v_add_co_u32 v13, s2, s14, v13
	v_add_co_ci_u32_e64 v14, null, s15, v14, s2
	global_load_dword v10, v[13:14], off
	s_waitcnt vmcnt(0)
	v_add_f32_e32 v5, v5, v10
.LBB11_39:                              ;   in Loop: Header=BB11_10 Depth=2
	s_or_b32 exec_lo, exec_lo, s44
	s_or_b32 exec_lo, exec_lo, s43
	s_mov_b32 s43, exec_lo
	v_cmpx_eq_u32_e64 v1, v7
	s_cbranch_execz .LBB11_23
.LBB11_40:                              ;   in Loop: Header=BB11_10 Depth=2
	v_add_co_u32 v13, s2, s6, v11
	v_add_co_ci_u32_e64 v14, null, s7, v12, s2
	global_load_dword v10, v[13:14], off
	s_waitcnt vmcnt(0)
	v_add_f32_e32 v5, v5, v10
	s_or_b32 exec_lo, exec_lo, s43
	v_cmp_class_f32_e64 s43, v16, 0x1f8
	s_and_saveexec_b32 s2, s43
	s_cbranch_execz .LBB11_9
.LBB11_41:                              ;   in Loop: Header=BB11_10 Depth=2
	s_and_saveexec_b32 s43, s1
	s_xor_b32 s43, exec_lo, s43
	s_cbranch_execz .LBB11_54
; %bb.42:                               ;   in Loop: Header=BB11_10 Depth=2
	s_mov_b32 s44, exec_lo
	v_cmpx_ge_i32_e64 v1, v7
	s_xor_b32 s44, exec_lo, s44
	s_cbranch_execz .LBB11_44
; %bb.43:                               ;   in Loop: Header=BB11_10 Depth=2
	v_add_co_u32 v7, s1, s6, v11
	v_add_co_ci_u32_e64 v8, null, s7, v12, s1
                                        ; implicit-def: $vgpr9
                                        ; implicit-def: $vgpr29
	global_store_dword v[7:8], v16, off
                                        ; implicit-def: $vgpr16
                                        ; implicit-def: $vgpr8
.LBB11_44:                              ;   in Loop: Header=BB11_10 Depth=2
	s_andn2_saveexec_b32 s1, s44
	s_cbranch_execz .LBB11_53
; %bb.45:                               ;   in Loop: Header=BB11_10 Depth=2
	s_and_saveexec_b32 s44, vcc_lo
	s_cbranch_execz .LBB11_52
; %bb.46:                               ;   in Loop: Header=BB11_10 Depth=2
	s_mov_b32 s45, 0
                                        ; implicit-def: $sgpr46
                                        ; implicit-def: $sgpr48
                                        ; implicit-def: $sgpr47
	s_inst_prefetch 0x1
	s_branch .LBB11_48
	.p2align	6
.LBB11_47:                              ;   in Loop: Header=BB11_48 Depth=3
	s_or_b32 exec_lo, exec_lo, s49
	s_and_b32 s49, exec_lo, s48
	s_or_b32 s45, s49, s45
	s_andn2_b32 s46, s46, exec_lo
	s_and_b32 s49, s47, exec_lo
	s_or_b32 s46, s46, s49
	s_andn2_b32 exec_lo, exec_lo, s45
	s_cbranch_execz .LBB11_50
.LBB11_48:                              ;   Parent Loop BB11_6 Depth=1
                                        ;     Parent Loop BB11_10 Depth=2
                                        ; =>    This Inner Loop Header: Depth=3
	v_add_nc_u32_e32 v10, v8, v9
	s_or_b32 s47, s47, exec_lo
	s_or_b32 s48, s48, exec_lo
	s_mov_b32 s49, exec_lo
	v_ashrrev_i32_e32 v11, 31, v10
	v_lshlrev_b64 v[10:11], 2, v[10:11]
	v_add_co_u32 v12, vcc_lo, s12, v10
	v_add_co_ci_u32_e64 v13, null, s13, v11, vcc_lo
	global_load_dword v2, v[12:13], off
	s_waitcnt vmcnt(0)
	v_subrev_nc_u32_e32 v2, s38, v2
	v_cmpx_ne_u32_e64 v2, v1
	s_cbranch_execz .LBB11_47
; %bb.49:                               ;   in Loop: Header=BB11_48 Depth=3
	v_add_nc_u32_e32 v9, 1, v9
	s_andn2_b32 s48, s48, exec_lo
	s_andn2_b32 s47, s47, exec_lo
	v_cmp_ge_i32_e32 vcc_lo, v9, v29
	s_and_b32 s50, vcc_lo, exec_lo
	s_or_b32 s48, s48, s50
	s_branch .LBB11_47
.LBB11_50:                              ;   in Loop: Header=BB11_10 Depth=2
	s_inst_prefetch 0x2
	s_or_b32 exec_lo, exec_lo, s45
	s_and_saveexec_b32 s45, s46
	s_xor_b32 s45, exec_lo, s45
	s_cbranch_execz .LBB11_52
; %bb.51:                               ;   in Loop: Header=BB11_10 Depth=2
	v_add_co_u32 v7, vcc_lo, s14, v10
	v_add_co_ci_u32_e64 v8, null, s15, v11, vcc_lo
	global_store_dword v[7:8], v16, off
.LBB11_52:                              ;   in Loop: Header=BB11_10 Depth=2
	s_or_b32 exec_lo, exec_lo, s44
.LBB11_53:                              ;   in Loop: Header=BB11_10 Depth=2
	s_or_b32 exec_lo, exec_lo, s1
                                        ; implicit-def: $vgpr16
                                        ; implicit-def: $vgpr7_vgpr8
.LBB11_54:                              ;   in Loop: Header=BB11_10 Depth=2
	s_andn2_saveexec_b32 s1, s43
	s_cbranch_execz .LBB11_9
; %bb.55:                               ;   in Loop: Header=BB11_10 Depth=2
	v_cmp_lt_i32_e32 vcc_lo, v2, v24
	s_and_b32 exec_lo, exec_lo, vcc_lo
	s_cbranch_execz .LBB11_9
; %bb.56:                               ;   in Loop: Header=BB11_10 Depth=2
	s_mov_b32 s1, 0
                                        ; implicit-def: $sgpr43
                                        ; implicit-def: $sgpr45
                                        ; implicit-def: $sgpr44
	s_inst_prefetch 0x1
	s_branch .LBB11_58
	.p2align	6
.LBB11_57:                              ;   in Loop: Header=BB11_58 Depth=3
	s_or_b32 exec_lo, exec_lo, s46
	s_and_b32 s46, exec_lo, s45
	s_or_b32 s1, s46, s1
	s_andn2_b32 s43, s43, exec_lo
	s_and_b32 s46, s44, exec_lo
	s_or_b32 s43, s43, s46
	s_andn2_b32 exec_lo, exec_lo, s1
	s_cbranch_execz .LBB11_60
.LBB11_58:                              ;   Parent Loop BB11_6 Depth=1
                                        ;     Parent Loop BB11_10 Depth=2
                                        ; =>    This Inner Loop Header: Depth=3
	v_add_nc_u32_e32 v8, v6, v2
	s_or_b32 s44, s44, exec_lo
	s_or_b32 s45, s45, exec_lo
	s_mov_b32 s46, exec_lo
	v_ashrrev_i32_e32 v9, 31, v8
	v_lshlrev_b64 v[8:9], 2, v[8:9]
	v_add_co_u32 v10, vcc_lo, s20, v8
	v_add_co_ci_u32_e64 v11, null, s21, v9, vcc_lo
	global_load_dword v10, v[10:11], off
	s_waitcnt vmcnt(0)
	v_subrev_nc_u32_e32 v10, s37, v10
	v_cmpx_ne_u32_e64 v10, v7
	s_cbranch_execz .LBB11_57
; %bb.59:                               ;   in Loop: Header=BB11_58 Depth=3
	v_add_nc_u32_e32 v2, 1, v2
	s_andn2_b32 s45, s45, exec_lo
	s_andn2_b32 s44, s44, exec_lo
	v_cmp_ge_i32_e32 vcc_lo, v2, v24
	s_and_b32 s47, vcc_lo, exec_lo
	s_or_b32 s45, s45, s47
	s_branch .LBB11_57
.LBB11_60:                              ;   in Loop: Header=BB11_10 Depth=2
	s_inst_prefetch 0x2
	s_or_b32 exec_lo, exec_lo, s1
	s_and_saveexec_b32 s1, s43
	s_xor_b32 s1, exec_lo, s1
	s_cbranch_execz .LBB11_9
; %bb.61:                               ;   in Loop: Header=BB11_10 Depth=2
	v_add_co_u32 v7, vcc_lo, s22, v8
	v_add_co_ci_u32_e64 v8, null, s23, v9, vcc_lo
	global_store_dword v[7:8], v16, off
	s_branch .LBB11_9
.LBB11_62:
	s_or_b32 exec_lo, exec_lo, s39
.LBB11_63:
	s_or_b32 exec_lo, exec_lo, s34
.LBB11_64:
	s_or_b32 exec_lo, exec_lo, s3
	v_mbcnt_lo_u32_b32 v1, -1, 0
	s_mov_b32 s0, exec_lo
	v_xor_b32_e32 v2, 8, v1
	v_xor_b32_e32 v3, 4, v1
	;; [unrolled: 1-line block ×3, first 2 shown]
	v_cmp_gt_i32_e32 vcc_lo, 32, v2
	v_cndmask_b32_e32 v2, v1, v2, vcc_lo
	v_cmp_gt_i32_e32 vcc_lo, 32, v3
	v_lshlrev_b32_e32 v2, 2, v2
	v_cndmask_b32_e32 v3, v1, v3, vcc_lo
	ds_bpermute_b32 v2, v2, v21
	v_lshlrev_b32_e32 v3, 2, v3
	s_waitcnt lgkmcnt(0)
	v_cmp_lt_f32_e32 vcc_lo, v21, v2
	v_cndmask_b32_e32 v2, v21, v2, vcc_lo
	v_cmp_gt_i32_e32 vcc_lo, 32, v4
	ds_bpermute_b32 v3, v3, v2
	v_cndmask_b32_e32 v4, v1, v4, vcc_lo
	v_lshlrev_b32_e32 v4, 2, v4
	s_waitcnt lgkmcnt(0)
	v_cmp_lt_f32_e32 vcc_lo, v2, v3
	v_cndmask_b32_e32 v2, v2, v3, vcc_lo
	ds_bpermute_b32 v3, v4, v2
	v_xor_b32_e32 v4, 1, v1
	v_cmp_gt_i32_e32 vcc_lo, 32, v4
	v_cndmask_b32_e32 v4, v1, v4, vcc_lo
	s_waitcnt lgkmcnt(0)
	v_cmp_lt_f32_e32 vcc_lo, v2, v3
	v_cndmask_b32_e32 v1, v2, v3, vcc_lo
	v_lshlrev_b32_e32 v2, 2, v4
	ds_bpermute_b32 v2, v2, v1
	v_cmpx_eq_u32_e32 15, v20
	s_cbranch_execz .LBB11_66
; %bb.65:
	s_waitcnt lgkmcnt(0)
	v_cmp_lt_f32_e32 vcc_lo, v1, v2
	v_lshlrev_b32_e32 v3, 2, v19
	v_cndmask_b32_e32 v1, v1, v2, vcc_lo
	ds_write_b32 v3, v1
.LBB11_66:
	s_or_b32 exec_lo, exec_lo, s0
	v_lshlrev_b32_e32 v1, 2, v0
	s_mov_b32 s0, exec_lo
	s_waitcnt lgkmcnt(0)
	s_waitcnt_vscnt null, 0x0
	s_barrier
	buffer_gl0_inv
	v_cmpx_gt_u32_e32 32, v0
	s_cbranch_execz .LBB11_68
; %bb.67:
	ds_read2_b32 v[2:3], v1 offset1:32
	s_waitcnt lgkmcnt(0)
	v_cmp_lt_f32_e32 vcc_lo, v2, v3
	v_cndmask_b32_e32 v2, v2, v3, vcc_lo
	ds_write_b32 v1, v2
.LBB11_68:
	s_or_b32 exec_lo, exec_lo, s0
	s_mov_b32 s0, exec_lo
	s_waitcnt lgkmcnt(0)
	s_barrier
	buffer_gl0_inv
	v_cmpx_gt_u32_e32 16, v0
	s_cbranch_execz .LBB11_70
; %bb.69:
	ds_read2_b32 v[2:3], v1 offset1:16
	s_waitcnt lgkmcnt(0)
	v_cmp_lt_f32_e32 vcc_lo, v2, v3
	v_cndmask_b32_e32 v2, v2, v3, vcc_lo
	ds_write_b32 v1, v2
.LBB11_70:
	s_or_b32 exec_lo, exec_lo, s0
	s_mov_b32 s0, exec_lo
	s_waitcnt lgkmcnt(0)
	;; [unrolled: 14-line block ×4, first 2 shown]
	s_barrier
	buffer_gl0_inv
	v_cmpx_gt_u32_e32 2, v0
	s_cbranch_execz .LBB11_76
; %bb.75:
	ds_read2_b32 v[2:3], v1 offset1:2
	s_waitcnt lgkmcnt(0)
	v_cmp_lt_f32_e32 vcc_lo, v2, v3
	v_cndmask_b32_e32 v2, v2, v3, vcc_lo
	ds_write_b32 v1, v2
.LBB11_76:
	s_or_b32 exec_lo, exec_lo, s0
	v_cmp_eq_u32_e32 vcc_lo, 0, v0
	s_waitcnt lgkmcnt(0)
	s_barrier
	buffer_gl0_inv
	s_and_saveexec_b32 s1, vcc_lo
	s_cbranch_execz .LBB11_78
; %bb.77:
	v_mov_b32_e32 v2, 0
	ds_read_b64 v[0:1], v2
	s_waitcnt lgkmcnt(0)
	v_cmp_lt_f32_e64 s0, v0, v1
	v_cndmask_b32_e64 v0, v0, v1, s0
	ds_write_b32 v2, v0
.LBB11_78:
	s_or_b32 exec_lo, exec_lo, s1
	s_waitcnt lgkmcnt(0)
	s_barrier
	buffer_gl0_inv
	s_and_saveexec_b32 s0, vcc_lo
	s_cbranch_execz .LBB11_82
; %bb.79:
	v_mbcnt_lo_u32_b32 v0, exec_lo, 0
	s_mov_b32 s6, 0
	v_cmp_eq_u32_e32 vcc_lo, 0, v0
	s_and_b32 exec_lo, exec_lo, vcc_lo
	s_cbranch_execz .LBB11_82
; %bb.80:
	s_load_dwordx4 s[0:3], s[4:5], 0x88
	v_mov_b32_e32 v2, 0
	ds_read_b32 v0, v2
	s_waitcnt lgkmcnt(0)
	s_load_dword s2, s[2:3], 0x0
	s_load_dword s3, s[0:1], 0x0
	s_waitcnt lgkmcnt(0)
	v_div_scale_f32 v1, null, s2, s2, v0
	v_rcp_f32_e32 v3, v1
	v_fma_f32 v4, -v1, v3, 1.0
	v_fmac_f32_e32 v3, v4, v3
	v_div_scale_f32 v4, vcc_lo, v0, s2, v0
	v_mul_f32_e32 v5, v4, v3
	v_fma_f32 v6, -v1, v5, v4
	v_fmac_f32_e32 v5, v6, v3
	v_fma_f32 v1, -v1, v5, v4
	v_div_fmas_f32 v1, v1, v3, v5
	v_div_fixup_f32 v0, v1, s2, v0
	v_mov_b32_e32 v1, s3
	v_max_f32_e32 v3, v0, v0
.LBB11_81:                              ; =>This Inner Loop Header: Depth=1
	v_max_f32_e32 v0, v1, v1
	v_max_f32_e32 v0, v0, v3
	global_atomic_cmpswap v0, v2, v[0:1], s[0:1] glc
	s_waitcnt vmcnt(0)
	v_cmp_eq_u32_e32 vcc_lo, v0, v1
	v_mov_b32_e32 v1, v0
	s_or_b32 s6, vcc_lo, s6
	s_andn2_b32 exec_lo, exec_lo, s6
	s_cbranch_execnz .LBB11_81
.LBB11_82:
	s_endpgm
	.section	.rodata,"a",@progbits
	.p2align	6, 0x0
	.amdhsa_kernel _ZN9rocsparseL17kernel_correctionILi1024ELi16EfiiEEvT3_T2_PKS2_S4_PKS1_PKT1_21rocsparse_index_base_S4_S4_S6_PS7_SA_S4_S4_S6_SB_SA_SB_PNS_15floating_traitsIS7_E6data_tEPKSE_
		.amdhsa_group_segment_fixed_size 256
		.amdhsa_private_segment_fixed_size 0
		.amdhsa_kernarg_size 152
		.amdhsa_user_sgpr_count 6
		.amdhsa_user_sgpr_private_segment_buffer 1
		.amdhsa_user_sgpr_dispatch_ptr 0
		.amdhsa_user_sgpr_queue_ptr 0
		.amdhsa_user_sgpr_kernarg_segment_ptr 1
		.amdhsa_user_sgpr_dispatch_id 0
		.amdhsa_user_sgpr_flat_scratch_init 0
		.amdhsa_user_sgpr_private_segment_size 0
		.amdhsa_wavefront_size32 1
		.amdhsa_uses_dynamic_stack 0
		.amdhsa_system_sgpr_private_segment_wavefront_offset 0
		.amdhsa_system_sgpr_workgroup_id_x 1
		.amdhsa_system_sgpr_workgroup_id_y 0
		.amdhsa_system_sgpr_workgroup_id_z 0
		.amdhsa_system_sgpr_workgroup_info 0
		.amdhsa_system_vgpr_workitem_id 0
		.amdhsa_next_free_vgpr 38
		.amdhsa_next_free_sgpr 51
		.amdhsa_reserve_vcc 1
		.amdhsa_reserve_flat_scratch 0
		.amdhsa_float_round_mode_32 0
		.amdhsa_float_round_mode_16_64 0
		.amdhsa_float_denorm_mode_32 3
		.amdhsa_float_denorm_mode_16_64 3
		.amdhsa_dx10_clamp 1
		.amdhsa_ieee_mode 1
		.amdhsa_fp16_overflow 0
		.amdhsa_workgroup_processor_mode 1
		.amdhsa_memory_ordered 1
		.amdhsa_forward_progress 1
		.amdhsa_shared_vgpr_count 0
		.amdhsa_exception_fp_ieee_invalid_op 0
		.amdhsa_exception_fp_denorm_src 0
		.amdhsa_exception_fp_ieee_div_zero 0
		.amdhsa_exception_fp_ieee_overflow 0
		.amdhsa_exception_fp_ieee_underflow 0
		.amdhsa_exception_fp_ieee_inexact 0
		.amdhsa_exception_int_div_zero 0
	.end_amdhsa_kernel
	.section	.text._ZN9rocsparseL17kernel_correctionILi1024ELi16EfiiEEvT3_T2_PKS2_S4_PKS1_PKT1_21rocsparse_index_base_S4_S4_S6_PS7_SA_S4_S4_S6_SB_SA_SB_PNS_15floating_traitsIS7_E6data_tEPKSE_,"axG",@progbits,_ZN9rocsparseL17kernel_correctionILi1024ELi16EfiiEEvT3_T2_PKS2_S4_PKS1_PKT1_21rocsparse_index_base_S4_S4_S6_PS7_SA_S4_S4_S6_SB_SA_SB_PNS_15floating_traitsIS7_E6data_tEPKSE_,comdat
.Lfunc_end11:
	.size	_ZN9rocsparseL17kernel_correctionILi1024ELi16EfiiEEvT3_T2_PKS2_S4_PKS1_PKT1_21rocsparse_index_base_S4_S4_S6_PS7_SA_S4_S4_S6_SB_SA_SB_PNS_15floating_traitsIS7_E6data_tEPKSE_, .Lfunc_end11-_ZN9rocsparseL17kernel_correctionILi1024ELi16EfiiEEvT3_T2_PKS2_S4_PKS1_PKT1_21rocsparse_index_base_S4_S4_S6_PS7_SA_S4_S4_S6_SB_SA_SB_PNS_15floating_traitsIS7_E6data_tEPKSE_
                                        ; -- End function
	.set _ZN9rocsparseL17kernel_correctionILi1024ELi16EfiiEEvT3_T2_PKS2_S4_PKS1_PKT1_21rocsparse_index_base_S4_S4_S6_PS7_SA_S4_S4_S6_SB_SA_SB_PNS_15floating_traitsIS7_E6data_tEPKSE_.num_vgpr, 38
	.set _ZN9rocsparseL17kernel_correctionILi1024ELi16EfiiEEvT3_T2_PKS2_S4_PKS1_PKT1_21rocsparse_index_base_S4_S4_S6_PS7_SA_S4_S4_S6_SB_SA_SB_PNS_15floating_traitsIS7_E6data_tEPKSE_.num_agpr, 0
	.set _ZN9rocsparseL17kernel_correctionILi1024ELi16EfiiEEvT3_T2_PKS2_S4_PKS1_PKT1_21rocsparse_index_base_S4_S4_S6_PS7_SA_S4_S4_S6_SB_SA_SB_PNS_15floating_traitsIS7_E6data_tEPKSE_.numbered_sgpr, 51
	.set _ZN9rocsparseL17kernel_correctionILi1024ELi16EfiiEEvT3_T2_PKS2_S4_PKS1_PKT1_21rocsparse_index_base_S4_S4_S6_PS7_SA_S4_S4_S6_SB_SA_SB_PNS_15floating_traitsIS7_E6data_tEPKSE_.num_named_barrier, 0
	.set _ZN9rocsparseL17kernel_correctionILi1024ELi16EfiiEEvT3_T2_PKS2_S4_PKS1_PKT1_21rocsparse_index_base_S4_S4_S6_PS7_SA_S4_S4_S6_SB_SA_SB_PNS_15floating_traitsIS7_E6data_tEPKSE_.private_seg_size, 0
	.set _ZN9rocsparseL17kernel_correctionILi1024ELi16EfiiEEvT3_T2_PKS2_S4_PKS1_PKT1_21rocsparse_index_base_S4_S4_S6_PS7_SA_S4_S4_S6_SB_SA_SB_PNS_15floating_traitsIS7_E6data_tEPKSE_.uses_vcc, 1
	.set _ZN9rocsparseL17kernel_correctionILi1024ELi16EfiiEEvT3_T2_PKS2_S4_PKS1_PKT1_21rocsparse_index_base_S4_S4_S6_PS7_SA_S4_S4_S6_SB_SA_SB_PNS_15floating_traitsIS7_E6data_tEPKSE_.uses_flat_scratch, 0
	.set _ZN9rocsparseL17kernel_correctionILi1024ELi16EfiiEEvT3_T2_PKS2_S4_PKS1_PKT1_21rocsparse_index_base_S4_S4_S6_PS7_SA_S4_S4_S6_SB_SA_SB_PNS_15floating_traitsIS7_E6data_tEPKSE_.has_dyn_sized_stack, 0
	.set _ZN9rocsparseL17kernel_correctionILi1024ELi16EfiiEEvT3_T2_PKS2_S4_PKS1_PKT1_21rocsparse_index_base_S4_S4_S6_PS7_SA_S4_S4_S6_SB_SA_SB_PNS_15floating_traitsIS7_E6data_tEPKSE_.has_recursion, 0
	.set _ZN9rocsparseL17kernel_correctionILi1024ELi16EfiiEEvT3_T2_PKS2_S4_PKS1_PKT1_21rocsparse_index_base_S4_S4_S6_PS7_SA_S4_S4_S6_SB_SA_SB_PNS_15floating_traitsIS7_E6data_tEPKSE_.has_indirect_call, 0
	.section	.AMDGPU.csdata,"",@progbits
; Kernel info:
; codeLenInByte = 3080
; TotalNumSgprs: 53
; NumVgprs: 38
; ScratchSize: 0
; MemoryBound: 0
; FloatMode: 240
; IeeeMode: 1
; LDSByteSize: 256 bytes/workgroup (compile time only)
; SGPRBlocks: 0
; VGPRBlocks: 4
; NumSGPRsForWavesPerEU: 53
; NumVGPRsForWavesPerEU: 38
; Occupancy: 16
; WaveLimiterHint : 1
; COMPUTE_PGM_RSRC2:SCRATCH_EN: 0
; COMPUTE_PGM_RSRC2:USER_SGPR: 6
; COMPUTE_PGM_RSRC2:TRAP_HANDLER: 0
; COMPUTE_PGM_RSRC2:TGID_X_EN: 1
; COMPUTE_PGM_RSRC2:TGID_Y_EN: 0
; COMPUTE_PGM_RSRC2:TGID_Z_EN: 0
; COMPUTE_PGM_RSRC2:TIDIG_COMP_CNT: 0
	.section	.text._ZN9rocsparseL17kernel_correctionILi1024ELi32EfiiEEvT3_T2_PKS2_S4_PKS1_PKT1_21rocsparse_index_base_S4_S4_S6_PS7_SA_S4_S4_S6_SB_SA_SB_PNS_15floating_traitsIS7_E6data_tEPKSE_,"axG",@progbits,_ZN9rocsparseL17kernel_correctionILi1024ELi32EfiiEEvT3_T2_PKS2_S4_PKS1_PKT1_21rocsparse_index_base_S4_S4_S6_PS7_SA_S4_S4_S6_SB_SA_SB_PNS_15floating_traitsIS7_E6data_tEPKSE_,comdat
	.globl	_ZN9rocsparseL17kernel_correctionILi1024ELi32EfiiEEvT3_T2_PKS2_S4_PKS1_PKT1_21rocsparse_index_base_S4_S4_S6_PS7_SA_S4_S4_S6_SB_SA_SB_PNS_15floating_traitsIS7_E6data_tEPKSE_ ; -- Begin function _ZN9rocsparseL17kernel_correctionILi1024ELi32EfiiEEvT3_T2_PKS2_S4_PKS1_PKT1_21rocsparse_index_base_S4_S4_S6_PS7_SA_S4_S4_S6_SB_SA_SB_PNS_15floating_traitsIS7_E6data_tEPKSE_
	.p2align	8
	.type	_ZN9rocsparseL17kernel_correctionILi1024ELi32EfiiEEvT3_T2_PKS2_S4_PKS1_PKT1_21rocsparse_index_base_S4_S4_S6_PS7_SA_S4_S4_S6_SB_SA_SB_PNS_15floating_traitsIS7_E6data_tEPKSE_,@function
_ZN9rocsparseL17kernel_correctionILi1024ELi32EfiiEEvT3_T2_PKS2_S4_PKS1_PKT1_21rocsparse_index_base_S4_S4_S6_PS7_SA_S4_S4_S6_SB_SA_SB_PNS_15floating_traitsIS7_E6data_tEPKSE_: ; @_ZN9rocsparseL17kernel_correctionILi1024ELi32EfiiEEvT3_T2_PKS2_S4_PKS1_PKT1_21rocsparse_index_base_S4_S4_S6_PS7_SA_S4_S4_S6_SB_SA_SB_PNS_15floating_traitsIS7_E6data_tEPKSE_
; %bb.0:
	s_load_dword s33, s[4:5], 0x0
	v_lshrrev_b32_e32 v19, 5, v0
	s_lshl_b32 s35, s6, 10
	v_and_b32_e32 v20, 31, v0
	v_mov_b32_e32 v21, 0
	s_mov_b32 s3, exec_lo
	v_or_b32_e32 v1, s35, v19
	s_waitcnt lgkmcnt(0)
	v_cmpx_gt_i32_e64 s33, v1
	s_cbranch_execz .LBB12_64
; %bb.1:
	v_mov_b32_e32 v21, 0
	s_addk_i32 s35, 0x400
	s_mov_b32 s34, exec_lo
	v_cmpx_gt_u32_e64 s35, v1
	s_cbranch_execz .LBB12_63
; %bb.2:
	s_clause 0x6
	s_load_dword s36, s[4:5], 0x28
	s_load_dwordx8 s[8:15], s[4:5], 0x58
	s_load_dwordx8 s[16:23], s[4:5], 0x30
	;; [unrolled: 1-line block ×3, first 2 shown]
	s_load_dword s37, s[4:5], 0x50
	s_load_dwordx2 s[6:7], s[4:5], 0x80
	s_load_dword s38, s[4:5], 0x78
	v_mov_b32_e32 v3, 0
	v_mov_b32_e32 v21, 0
	s_mov_b32 s39, 0
	s_waitcnt lgkmcnt(0)
	v_subrev_nc_u32_e32 v22, s36, v20
	s_branch .LBB12_6
.LBB12_3:                               ;   in Loop: Header=BB12_6 Depth=1
	s_or_b32 exec_lo, exec_lo, s42
.LBB12_4:                               ;   in Loop: Header=BB12_6 Depth=1
	s_or_b32 exec_lo, exec_lo, s41
.LBB12_5:                               ;   in Loop: Header=BB12_6 Depth=1
	s_or_b32 exec_lo, exec_lo, s40
	v_add_nc_u32_e32 v1, 32, v1
	v_cmp_le_u32_e32 vcc_lo, s35, v1
	s_or_b32 s39, vcc_lo, s39
	s_andn2_b32 exec_lo, exec_lo, s39
	s_cbranch_execz .LBB12_62
.LBB12_6:                               ; =>This Loop Header: Depth=1
                                        ;     Child Loop BB12_10 Depth 2
                                        ;       Child Loop BB12_14 Depth 3
                                        ;       Child Loop BB12_27 Depth 3
	;; [unrolled: 1-line block ×5, first 2 shown]
	s_mov_b32 s40, exec_lo
	v_cmpx_gt_i32_e64 s33, v1
	s_cbranch_execz .LBB12_5
; %bb.7:                                ;   in Loop: Header=BB12_6 Depth=1
	v_ashrrev_i32_e32 v2, 31, v1
	s_mov_b32 s41, exec_lo
	v_lshlrev_b64 v[5:6], 2, v[1:2]
	v_add_co_u32 v7, vcc_lo, s24, v5
	v_add_co_ci_u32_e64 v8, null, s25, v6, vcc_lo
	v_add_co_u32 v9, vcc_lo, s26, v5
	v_add_co_ci_u32_e64 v10, null, s27, v6, vcc_lo
	global_load_dword v2, v[7:8], off
	global_load_dword v7, v[9:10], off
	s_waitcnt vmcnt(1)
	v_add_nc_u32_e32 v4, v22, v2
	s_waitcnt vmcnt(0)
	v_subrev_nc_u32_e32 v23, s36, v7
	v_cmpx_lt_i32_e64 v4, v23
	s_cbranch_execz .LBB12_4
; %bb.8:                                ;   in Loop: Header=BB12_6 Depth=1
	v_add_co_u32 v7, vcc_lo, s16, v5
	v_add_co_ci_u32_e64 v8, null, s17, v6, vcc_lo
	v_add_co_u32 v5, vcc_lo, s18, v5
	v_add_co_ci_u32_e64 v6, null, s19, v6, vcc_lo
	global_load_dword v2, v[7:8], off
	s_mov_b32 s42, 0
	global_load_dword v5, v[5:6], off
	s_waitcnt vmcnt(1)
	v_subrev_nc_u32_e32 v6, s37, v2
	s_waitcnt vmcnt(0)
	v_sub_nc_u32_e32 v24, v5, v2
	v_ashrrev_i32_e32 v7, 31, v6
	v_cmp_lt_i32_e64 s0, 0, v24
	v_lshlrev_b64 v[7:8], 2, v[6:7]
	v_add_co_u32 v25, vcc_lo, s20, v7
	v_add_co_ci_u32_e64 v26, null, s21, v8, vcc_lo
	v_add_co_u32 v27, vcc_lo, s22, v7
	v_add_co_ci_u32_e64 v28, null, s23, v8, vcc_lo
	s_branch .LBB12_10
.LBB12_9:                               ;   in Loop: Header=BB12_10 Depth=2
	s_or_b32 exec_lo, exec_lo, s2
	v_sub_f32_e32 v2, v15, v5
	v_add_nc_u32_e32 v4, 32, v4
	v_cmp_nlg_f32_e64 s1, 0x7f800000, |v2|
	v_cmp_gt_f32_e64 s2, v21, |v2|
	v_cmp_ge_i32_e32 vcc_lo, v4, v23
	s_or_b32 s1, s1, s2
	s_or_b32 s42, vcc_lo, s42
	v_cndmask_b32_e64 v21, |v2|, v21, s1
	s_andn2_b32 exec_lo, exec_lo, s42
	s_cbranch_execz .LBB12_3
.LBB12_10:                              ;   Parent Loop BB12_6 Depth=1
                                        ; =>  This Loop Header: Depth=2
                                        ;       Child Loop BB12_14 Depth 3
                                        ;       Child Loop BB12_27 Depth 3
	;; [unrolled: 1-line block ×5, first 2 shown]
	v_ashrrev_i32_e32 v5, 31, v4
	v_lshlrev_b64 v[13:14], 2, v[4:5]
	v_mov_b32_e32 v5, 0
	v_add_co_u32 v7, vcc_lo, s28, v13
	v_add_co_ci_u32_e64 v8, null, s29, v14, vcc_lo
	global_load_dword v2, v[7:8], off
	s_waitcnt vmcnt(0)
	v_subrev_nc_u32_e32 v7, s36, v2
	v_ashrrev_i32_e32 v8, 31, v7
	v_lshlrev_b64 v[11:12], 2, v[7:8]
	v_add_co_u32 v8, vcc_lo, s8, v11
	v_add_co_ci_u32_e64 v9, null, s9, v12, vcc_lo
	v_add_co_u32 v15, vcc_lo, s10, v11
	v_add_co_ci_u32_e64 v16, null, s11, v12, vcc_lo
	global_load_dword v2, v[8:9], off
	global_load_dword v10, v[15:16], off
	v_mov_b32_e32 v9, 0
	s_waitcnt vmcnt(1)
	v_subrev_nc_u32_e32 v8, s38, v2
	s_waitcnt vmcnt(0)
	v_sub_nc_u32_e32 v29, v10, v2
	v_mov_b32_e32 v2, v9
	s_and_saveexec_b32 s2, s0
	s_cbranch_execz .LBB12_18
; %bb.11:                               ;   in Loop: Header=BB12_10 Depth=2
	v_ashrrev_i32_e32 v9, 31, v8
	v_mov_b32_e32 v5, 0
	v_mov_b32_e32 v2, 0
	s_mov_b32 s43, 0
                                        ; implicit-def: $sgpr44
	v_lshlrev_b64 v[9:10], 2, v[8:9]
	v_add_co_u32 v30, vcc_lo, s12, v9
	v_add_co_ci_u32_e64 v31, null, s13, v10, vcc_lo
	v_add_co_u32 v32, vcc_lo, s14, v9
	v_add_co_ci_u32_e64 v33, null, s15, v10, vcc_lo
	v_mov_b32_e32 v9, 0
	s_branch .LBB12_14
.LBB12_12:                              ;   in Loop: Header=BB12_14 Depth=3
	s_or_b32 exec_lo, exec_lo, s1
	v_cmp_le_i32_e32 vcc_lo, v10, v34
	v_cmp_ge_i32_e64 s1, v10, v34
	v_add_co_ci_u32_e64 v2, null, 0, v2, vcc_lo
	v_add_co_ci_u32_e64 v9, null, 0, v9, s1
	s_andn2_b32 s1, s44, exec_lo
	v_cmp_ge_i32_e32 vcc_lo, v2, v24
	s_and_b32 s44, vcc_lo, exec_lo
	s_or_b32 s44, s1, s44
.LBB12_13:                              ;   in Loop: Header=BB12_14 Depth=3
	s_or_b32 exec_lo, exec_lo, s45
	s_and_b32 s1, exec_lo, s44
	s_or_b32 s43, s1, s43
	s_andn2_b32 exec_lo, exec_lo, s43
	s_cbranch_execz .LBB12_17
.LBB12_14:                              ;   Parent Loop BB12_6 Depth=1
                                        ;     Parent Loop BB12_10 Depth=2
                                        ; =>    This Inner Loop Header: Depth=3
	s_or_b32 s44, s44, exec_lo
	s_mov_b32 s45, exec_lo
	v_cmpx_lt_i32_e64 v9, v29
	s_cbranch_execz .LBB12_13
; %bb.15:                               ;   in Loop: Header=BB12_14 Depth=3
	v_mov_b32_e32 v10, v3
	v_lshlrev_b64 v[17:18], 2, v[2:3]
	s_mov_b32 s1, exec_lo
	v_lshlrev_b64 v[15:16], 2, v[9:10]
	v_add_co_u32 v34, vcc_lo, v25, v17
	v_add_co_ci_u32_e64 v35, null, v26, v18, vcc_lo
	v_add_co_u32 v36, vcc_lo, v30, v15
	v_add_co_ci_u32_e64 v37, null, v31, v16, vcc_lo
	global_load_dword v10, v[34:35], off
	global_load_dword v34, v[36:37], off
	s_waitcnt vmcnt(1)
	v_subrev_nc_u32_e32 v10, s37, v10
	s_waitcnt vmcnt(0)
	v_subrev_nc_u32_e32 v34, s38, v34
	v_cmpx_eq_u32_e64 v10, v34
	s_cbranch_execz .LBB12_12
; %bb.16:                               ;   in Loop: Header=BB12_14 Depth=3
	v_add_co_u32 v17, vcc_lo, v27, v17
	v_add_co_ci_u32_e64 v18, null, v28, v18, vcc_lo
	v_add_co_u32 v15, vcc_lo, v32, v15
	v_add_co_ci_u32_e64 v16, null, v33, v16, vcc_lo
	global_load_dword v17, v[17:18], off
	global_load_dword v15, v[15:16], off
	s_waitcnt vmcnt(0)
	v_fmac_f32_e32 v5, v17, v15
	s_branch .LBB12_12
.LBB12_17:                              ;   in Loop: Header=BB12_10 Depth=2
	s_or_b32 exec_lo, exec_lo, s43
.LBB12_18:                              ;   in Loop: Header=BB12_10 Depth=2
	s_or_b32 exec_lo, exec_lo, s2
	v_add_co_u32 v13, vcc_lo, s30, v13
	v_add_co_ci_u32_e64 v14, null, s31, v14, vcc_lo
	v_cmp_le_i32_e64 s1, v1, v7
	s_mov_b32 s2, exec_lo
	global_load_dword v15, v[13:14], off
	s_waitcnt vmcnt(0)
	v_sub_f32_e32 v16, v15, v5
	v_cmpx_gt_i32_e64 v1, v7
	s_cbranch_execz .LBB12_20
; %bb.19:                               ;   in Loop: Header=BB12_10 Depth=2
	v_add_co_u32 v13, vcc_lo, s6, v11
	v_add_co_ci_u32_e64 v14, null, s7, v12, vcc_lo
	global_load_dword v10, v[13:14], off
	s_waitcnt vmcnt(0)
	v_div_scale_f32 v13, null, v10, v10, v16
	v_rcp_f32_e32 v14, v13
	v_fma_f32 v17, -v13, v14, 1.0
	v_fmac_f32_e32 v14, v17, v14
	v_div_scale_f32 v17, vcc_lo, v16, v10, v16
	v_mul_f32_e32 v18, v17, v14
	v_fma_f32 v30, -v13, v18, v17
	v_fmac_f32_e32 v18, v30, v14
	v_fma_f32 v13, -v13, v18, v17
	v_div_fmas_f32 v13, v13, v14, v18
	v_div_fixup_f32 v16, v13, v10, v16
.LBB12_20:                              ;   in Loop: Header=BB12_10 Depth=2
	s_or_b32 exec_lo, exec_lo, s2
	s_mov_b32 s43, exec_lo
	v_cmp_lt_i32_e32 vcc_lo, v9, v29
	v_cmpx_ge_i32_e64 v9, v29
	s_xor_b32 s43, exec_lo, s43
	s_cbranch_execnz .LBB12_24
; %bb.21:                               ;   in Loop: Header=BB12_10 Depth=2
	s_andn2_saveexec_b32 s43, s43
	s_cbranch_execnz .LBB12_33
.LBB12_22:                              ;   in Loop: Header=BB12_10 Depth=2
	s_or_b32 exec_lo, exec_lo, s43
	s_mov_b32 s43, exec_lo
	v_cmpx_eq_u32_e64 v1, v7
	s_cbranch_execnz .LBB12_40
.LBB12_23:                              ;   in Loop: Header=BB12_10 Depth=2
	s_or_b32 exec_lo, exec_lo, s43
	v_cmp_class_f32_e64 s43, v16, 0x1f8
	s_and_saveexec_b32 s2, s43
	s_cbranch_execz .LBB12_9
	s_branch .LBB12_41
.LBB12_24:                              ;   in Loop: Header=BB12_10 Depth=2
	s_mov_b32 s44, exec_lo
	v_cmpx_lt_i32_e64 v2, v24
	s_cbranch_execz .LBB12_32
; %bb.25:                               ;   in Loop: Header=BB12_10 Depth=2
	v_mov_b32_e32 v10, v2
	s_mov_b32 s45, 0
                                        ; implicit-def: $sgpr46
                                        ; implicit-def: $sgpr48
                                        ; implicit-def: $sgpr47
	s_inst_prefetch 0x1
	s_branch .LBB12_27
	.p2align	6
.LBB12_26:                              ;   in Loop: Header=BB12_27 Depth=3
	s_or_b32 exec_lo, exec_lo, s49
	s_and_b32 s2, exec_lo, s48
	s_or_b32 s45, s2, s45
	s_andn2_b32 s2, s46, exec_lo
	s_and_b32 s46, s47, exec_lo
	s_or_b32 s46, s2, s46
	s_andn2_b32 exec_lo, exec_lo, s45
	s_cbranch_execz .LBB12_29
.LBB12_27:                              ;   Parent Loop BB12_6 Depth=1
                                        ;     Parent Loop BB12_10 Depth=2
                                        ; =>    This Inner Loop Header: Depth=3
	v_add_nc_u32_e32 v13, v6, v10
	s_or_b32 s47, s47, exec_lo
	s_or_b32 s48, s48, exec_lo
	s_mov_b32 s49, exec_lo
	v_ashrrev_i32_e32 v14, 31, v13
	v_lshlrev_b64 v[13:14], 2, v[13:14]
	v_add_co_u32 v17, s2, s20, v13
	v_add_co_ci_u32_e64 v18, null, s21, v14, s2
	global_load_dword v17, v[17:18], off
	s_waitcnt vmcnt(0)
	v_subrev_nc_u32_e32 v17, s37, v17
	v_cmpx_ne_u32_e64 v17, v7
	s_cbranch_execz .LBB12_26
; %bb.28:                               ;   in Loop: Header=BB12_27 Depth=3
	v_add_nc_u32_e32 v10, 1, v10
	s_andn2_b32 s48, s48, exec_lo
	s_andn2_b32 s47, s47, exec_lo
	v_cmp_ge_i32_e64 s2, v10, v24
	s_and_b32 s2, s2, exec_lo
	s_or_b32 s48, s48, s2
	s_branch .LBB12_26
.LBB12_29:                              ;   in Loop: Header=BB12_10 Depth=2
	s_inst_prefetch 0x2
	s_or_b32 exec_lo, exec_lo, s45
	s_and_saveexec_b32 s2, s46
	s_xor_b32 s45, exec_lo, s2
	s_cbranch_execz .LBB12_31
; %bb.30:                               ;   in Loop: Header=BB12_10 Depth=2
	v_add_co_u32 v13, s2, s22, v13
	v_add_co_ci_u32_e64 v14, null, s23, v14, s2
	v_add_co_u32 v17, s2, s6, v11
	v_add_co_ci_u32_e64 v18, null, s7, v12, s2
	global_load_dword v10, v[13:14], off
	global_load_dword v13, v[17:18], off
	s_waitcnt vmcnt(0)
	v_fmac_f32_e32 v5, v10, v13
.LBB12_31:                              ;   in Loop: Header=BB12_10 Depth=2
	s_or_b32 exec_lo, exec_lo, s45
.LBB12_32:                              ;   in Loop: Header=BB12_10 Depth=2
	s_or_b32 exec_lo, exec_lo, s44
	s_andn2_saveexec_b32 s43, s43
	s_cbranch_execz .LBB12_22
.LBB12_33:                              ;   in Loop: Header=BB12_10 Depth=2
	v_mov_b32_e32 v10, v9
	s_mov_b32 s44, 0
                                        ; implicit-def: $sgpr45
                                        ; implicit-def: $sgpr47
                                        ; implicit-def: $sgpr46
	s_inst_prefetch 0x1
	s_branch .LBB12_35
	.p2align	6
.LBB12_34:                              ;   in Loop: Header=BB12_35 Depth=3
	s_or_b32 exec_lo, exec_lo, s48
	s_and_b32 s2, exec_lo, s47
	s_or_b32 s44, s2, s44
	s_andn2_b32 s2, s45, exec_lo
	s_and_b32 s45, s46, exec_lo
	s_or_b32 s45, s2, s45
	s_andn2_b32 exec_lo, exec_lo, s44
	s_cbranch_execz .LBB12_37
.LBB12_35:                              ;   Parent Loop BB12_6 Depth=1
                                        ;     Parent Loop BB12_10 Depth=2
                                        ; =>    This Inner Loop Header: Depth=3
	v_add_nc_u32_e32 v13, v8, v10
	s_or_b32 s46, s46, exec_lo
	s_or_b32 s47, s47, exec_lo
	s_mov_b32 s48, exec_lo
	v_ashrrev_i32_e32 v14, 31, v13
	v_lshlrev_b64 v[13:14], 2, v[13:14]
	v_add_co_u32 v17, s2, s12, v13
	v_add_co_ci_u32_e64 v18, null, s13, v14, s2
	global_load_dword v17, v[17:18], off
	s_waitcnt vmcnt(0)
	v_subrev_nc_u32_e32 v17, s38, v17
	v_cmpx_ne_u32_e64 v17, v1
	s_cbranch_execz .LBB12_34
; %bb.36:                               ;   in Loop: Header=BB12_35 Depth=3
	v_add_nc_u32_e32 v10, 1, v10
	s_andn2_b32 s47, s47, exec_lo
	s_andn2_b32 s46, s46, exec_lo
	v_cmp_ge_i32_e64 s2, v10, v29
	s_and_b32 s2, s2, exec_lo
	s_or_b32 s47, s47, s2
	s_branch .LBB12_34
.LBB12_37:                              ;   in Loop: Header=BB12_10 Depth=2
	s_inst_prefetch 0x2
	s_or_b32 exec_lo, exec_lo, s44
	s_and_saveexec_b32 s2, s45
	s_xor_b32 s44, exec_lo, s2
	s_cbranch_execz .LBB12_39
; %bb.38:                               ;   in Loop: Header=BB12_10 Depth=2
	v_add_co_u32 v13, s2, s14, v13
	v_add_co_ci_u32_e64 v14, null, s15, v14, s2
	global_load_dword v10, v[13:14], off
	s_waitcnt vmcnt(0)
	v_add_f32_e32 v5, v5, v10
.LBB12_39:                              ;   in Loop: Header=BB12_10 Depth=2
	s_or_b32 exec_lo, exec_lo, s44
	s_or_b32 exec_lo, exec_lo, s43
	s_mov_b32 s43, exec_lo
	v_cmpx_eq_u32_e64 v1, v7
	s_cbranch_execz .LBB12_23
.LBB12_40:                              ;   in Loop: Header=BB12_10 Depth=2
	v_add_co_u32 v13, s2, s6, v11
	v_add_co_ci_u32_e64 v14, null, s7, v12, s2
	global_load_dword v10, v[13:14], off
	s_waitcnt vmcnt(0)
	v_add_f32_e32 v5, v5, v10
	s_or_b32 exec_lo, exec_lo, s43
	v_cmp_class_f32_e64 s43, v16, 0x1f8
	s_and_saveexec_b32 s2, s43
	s_cbranch_execz .LBB12_9
.LBB12_41:                              ;   in Loop: Header=BB12_10 Depth=2
	s_and_saveexec_b32 s43, s1
	s_xor_b32 s43, exec_lo, s43
	s_cbranch_execz .LBB12_54
; %bb.42:                               ;   in Loop: Header=BB12_10 Depth=2
	s_mov_b32 s44, exec_lo
	v_cmpx_ge_i32_e64 v1, v7
	s_xor_b32 s44, exec_lo, s44
	s_cbranch_execz .LBB12_44
; %bb.43:                               ;   in Loop: Header=BB12_10 Depth=2
	v_add_co_u32 v7, s1, s6, v11
	v_add_co_ci_u32_e64 v8, null, s7, v12, s1
                                        ; implicit-def: $vgpr9
                                        ; implicit-def: $vgpr29
	global_store_dword v[7:8], v16, off
                                        ; implicit-def: $vgpr16
                                        ; implicit-def: $vgpr8
.LBB12_44:                              ;   in Loop: Header=BB12_10 Depth=2
	s_andn2_saveexec_b32 s1, s44
	s_cbranch_execz .LBB12_53
; %bb.45:                               ;   in Loop: Header=BB12_10 Depth=2
	s_and_saveexec_b32 s44, vcc_lo
	s_cbranch_execz .LBB12_52
; %bb.46:                               ;   in Loop: Header=BB12_10 Depth=2
	s_mov_b32 s45, 0
                                        ; implicit-def: $sgpr46
                                        ; implicit-def: $sgpr48
                                        ; implicit-def: $sgpr47
	s_inst_prefetch 0x1
	s_branch .LBB12_48
	.p2align	6
.LBB12_47:                              ;   in Loop: Header=BB12_48 Depth=3
	s_or_b32 exec_lo, exec_lo, s49
	s_and_b32 s49, exec_lo, s48
	s_or_b32 s45, s49, s45
	s_andn2_b32 s46, s46, exec_lo
	s_and_b32 s49, s47, exec_lo
	s_or_b32 s46, s46, s49
	s_andn2_b32 exec_lo, exec_lo, s45
	s_cbranch_execz .LBB12_50
.LBB12_48:                              ;   Parent Loop BB12_6 Depth=1
                                        ;     Parent Loop BB12_10 Depth=2
                                        ; =>    This Inner Loop Header: Depth=3
	v_add_nc_u32_e32 v10, v8, v9
	s_or_b32 s47, s47, exec_lo
	s_or_b32 s48, s48, exec_lo
	s_mov_b32 s49, exec_lo
	v_ashrrev_i32_e32 v11, 31, v10
	v_lshlrev_b64 v[10:11], 2, v[10:11]
	v_add_co_u32 v12, vcc_lo, s12, v10
	v_add_co_ci_u32_e64 v13, null, s13, v11, vcc_lo
	global_load_dword v2, v[12:13], off
	s_waitcnt vmcnt(0)
	v_subrev_nc_u32_e32 v2, s38, v2
	v_cmpx_ne_u32_e64 v2, v1
	s_cbranch_execz .LBB12_47
; %bb.49:                               ;   in Loop: Header=BB12_48 Depth=3
	v_add_nc_u32_e32 v9, 1, v9
	s_andn2_b32 s48, s48, exec_lo
	s_andn2_b32 s47, s47, exec_lo
	v_cmp_ge_i32_e32 vcc_lo, v9, v29
	s_and_b32 s50, vcc_lo, exec_lo
	s_or_b32 s48, s48, s50
	s_branch .LBB12_47
.LBB12_50:                              ;   in Loop: Header=BB12_10 Depth=2
	s_inst_prefetch 0x2
	s_or_b32 exec_lo, exec_lo, s45
	s_and_saveexec_b32 s45, s46
	s_xor_b32 s45, exec_lo, s45
	s_cbranch_execz .LBB12_52
; %bb.51:                               ;   in Loop: Header=BB12_10 Depth=2
	v_add_co_u32 v7, vcc_lo, s14, v10
	v_add_co_ci_u32_e64 v8, null, s15, v11, vcc_lo
	global_store_dword v[7:8], v16, off
.LBB12_52:                              ;   in Loop: Header=BB12_10 Depth=2
	s_or_b32 exec_lo, exec_lo, s44
.LBB12_53:                              ;   in Loop: Header=BB12_10 Depth=2
	s_or_b32 exec_lo, exec_lo, s1
                                        ; implicit-def: $vgpr16
                                        ; implicit-def: $vgpr7_vgpr8
.LBB12_54:                              ;   in Loop: Header=BB12_10 Depth=2
	s_andn2_saveexec_b32 s1, s43
	s_cbranch_execz .LBB12_9
; %bb.55:                               ;   in Loop: Header=BB12_10 Depth=2
	v_cmp_lt_i32_e32 vcc_lo, v2, v24
	s_and_b32 exec_lo, exec_lo, vcc_lo
	s_cbranch_execz .LBB12_9
; %bb.56:                               ;   in Loop: Header=BB12_10 Depth=2
	s_mov_b32 s1, 0
                                        ; implicit-def: $sgpr43
                                        ; implicit-def: $sgpr45
                                        ; implicit-def: $sgpr44
	s_inst_prefetch 0x1
	s_branch .LBB12_58
	.p2align	6
.LBB12_57:                              ;   in Loop: Header=BB12_58 Depth=3
	s_or_b32 exec_lo, exec_lo, s46
	s_and_b32 s46, exec_lo, s45
	s_or_b32 s1, s46, s1
	s_andn2_b32 s43, s43, exec_lo
	s_and_b32 s46, s44, exec_lo
	s_or_b32 s43, s43, s46
	s_andn2_b32 exec_lo, exec_lo, s1
	s_cbranch_execz .LBB12_60
.LBB12_58:                              ;   Parent Loop BB12_6 Depth=1
                                        ;     Parent Loop BB12_10 Depth=2
                                        ; =>    This Inner Loop Header: Depth=3
	v_add_nc_u32_e32 v8, v6, v2
	s_or_b32 s44, s44, exec_lo
	s_or_b32 s45, s45, exec_lo
	s_mov_b32 s46, exec_lo
	v_ashrrev_i32_e32 v9, 31, v8
	v_lshlrev_b64 v[8:9], 2, v[8:9]
	v_add_co_u32 v10, vcc_lo, s20, v8
	v_add_co_ci_u32_e64 v11, null, s21, v9, vcc_lo
	global_load_dword v10, v[10:11], off
	s_waitcnt vmcnt(0)
	v_subrev_nc_u32_e32 v10, s37, v10
	v_cmpx_ne_u32_e64 v10, v7
	s_cbranch_execz .LBB12_57
; %bb.59:                               ;   in Loop: Header=BB12_58 Depth=3
	v_add_nc_u32_e32 v2, 1, v2
	s_andn2_b32 s45, s45, exec_lo
	s_andn2_b32 s44, s44, exec_lo
	v_cmp_ge_i32_e32 vcc_lo, v2, v24
	s_and_b32 s47, vcc_lo, exec_lo
	s_or_b32 s45, s45, s47
	s_branch .LBB12_57
.LBB12_60:                              ;   in Loop: Header=BB12_10 Depth=2
	s_inst_prefetch 0x2
	s_or_b32 exec_lo, exec_lo, s1
	s_and_saveexec_b32 s1, s43
	s_xor_b32 s1, exec_lo, s1
	s_cbranch_execz .LBB12_9
; %bb.61:                               ;   in Loop: Header=BB12_10 Depth=2
	v_add_co_u32 v7, vcc_lo, s22, v8
	v_add_co_ci_u32_e64 v8, null, s23, v9, vcc_lo
	global_store_dword v[7:8], v16, off
	s_branch .LBB12_9
.LBB12_62:
	s_or_b32 exec_lo, exec_lo, s39
.LBB12_63:
	s_or_b32 exec_lo, exec_lo, s34
.LBB12_64:
	s_or_b32 exec_lo, exec_lo, s3
	v_mbcnt_lo_u32_b32 v1, -1, 0
	s_mov_b32 s0, exec_lo
	v_xor_b32_e32 v2, 16, v1
	v_xor_b32_e32 v3, 8, v1
	v_xor_b32_e32 v4, 4, v1
	v_cmp_gt_i32_e32 vcc_lo, 32, v2
	v_cndmask_b32_e32 v2, v1, v2, vcc_lo
	v_cmp_gt_i32_e32 vcc_lo, 32, v3
	v_lshlrev_b32_e32 v2, 2, v2
	v_cndmask_b32_e32 v3, v1, v3, vcc_lo
	ds_bpermute_b32 v2, v2, v21
	v_lshlrev_b32_e32 v3, 2, v3
	s_waitcnt lgkmcnt(0)
	v_cmp_lt_f32_e32 vcc_lo, v21, v2
	v_cndmask_b32_e32 v2, v21, v2, vcc_lo
	v_cmp_gt_i32_e32 vcc_lo, 32, v4
	ds_bpermute_b32 v3, v3, v2
	v_cndmask_b32_e32 v4, v1, v4, vcc_lo
	v_lshlrev_b32_e32 v4, 2, v4
	s_waitcnt lgkmcnt(0)
	v_cmp_lt_f32_e32 vcc_lo, v2, v3
	v_cndmask_b32_e32 v2, v2, v3, vcc_lo
	ds_bpermute_b32 v3, v4, v2
	v_xor_b32_e32 v4, 2, v1
	v_cmp_gt_i32_e32 vcc_lo, 32, v4
	v_cndmask_b32_e32 v4, v1, v4, vcc_lo
	v_lshlrev_b32_e32 v4, 2, v4
	s_waitcnt lgkmcnt(0)
	v_cmp_lt_f32_e32 vcc_lo, v2, v3
	v_cndmask_b32_e32 v2, v2, v3, vcc_lo
	ds_bpermute_b32 v3, v4, v2
	v_xor_b32_e32 v4, 1, v1
	v_cmp_gt_i32_e32 vcc_lo, 32, v4
	v_cndmask_b32_e32 v4, v1, v4, vcc_lo
	s_waitcnt lgkmcnt(0)
	v_cmp_lt_f32_e32 vcc_lo, v2, v3
	v_cndmask_b32_e32 v1, v2, v3, vcc_lo
	v_lshlrev_b32_e32 v2, 2, v4
	ds_bpermute_b32 v2, v2, v1
	v_cmpx_eq_u32_e32 31, v20
	s_cbranch_execz .LBB12_66
; %bb.65:
	s_waitcnt lgkmcnt(0)
	v_cmp_lt_f32_e32 vcc_lo, v1, v2
	v_lshlrev_b32_e32 v3, 2, v19
	v_cndmask_b32_e32 v1, v1, v2, vcc_lo
	ds_write_b32 v3, v1
.LBB12_66:
	s_or_b32 exec_lo, exec_lo, s0
	v_lshlrev_b32_e32 v1, 2, v0
	s_mov_b32 s0, exec_lo
	s_waitcnt lgkmcnt(0)
	s_waitcnt_vscnt null, 0x0
	s_barrier
	buffer_gl0_inv
	v_cmpx_gt_u32_e32 16, v0
	s_cbranch_execz .LBB12_68
; %bb.67:
	ds_read2_b32 v[2:3], v1 offset1:16
	s_waitcnt lgkmcnt(0)
	v_cmp_lt_f32_e32 vcc_lo, v2, v3
	v_cndmask_b32_e32 v2, v2, v3, vcc_lo
	ds_write_b32 v1, v2
.LBB12_68:
	s_or_b32 exec_lo, exec_lo, s0
	s_mov_b32 s0, exec_lo
	s_waitcnt lgkmcnt(0)
	s_barrier
	buffer_gl0_inv
	v_cmpx_gt_u32_e32 8, v0
	s_cbranch_execz .LBB12_70
; %bb.69:
	ds_read2_b32 v[2:3], v1 offset1:8
	s_waitcnt lgkmcnt(0)
	v_cmp_lt_f32_e32 vcc_lo, v2, v3
	v_cndmask_b32_e32 v2, v2, v3, vcc_lo
	ds_write_b32 v1, v2
.LBB12_70:
	s_or_b32 exec_lo, exec_lo, s0
	s_mov_b32 s0, exec_lo
	s_waitcnt lgkmcnt(0)
	s_barrier
	buffer_gl0_inv
	v_cmpx_gt_u32_e32 4, v0
	s_cbranch_execz .LBB12_72
; %bb.71:
	ds_read2_b32 v[2:3], v1 offset1:4
	s_waitcnt lgkmcnt(0)
	v_cmp_lt_f32_e32 vcc_lo, v2, v3
	v_cndmask_b32_e32 v2, v2, v3, vcc_lo
	ds_write_b32 v1, v2
.LBB12_72:
	s_or_b32 exec_lo, exec_lo, s0
	s_mov_b32 s0, exec_lo
	s_waitcnt lgkmcnt(0)
	s_barrier
	buffer_gl0_inv
	v_cmpx_gt_u32_e32 2, v0
	s_cbranch_execz .LBB12_74
; %bb.73:
	ds_read2_b32 v[2:3], v1 offset1:2
	s_waitcnt lgkmcnt(0)
	v_cmp_lt_f32_e32 vcc_lo, v2, v3
	v_cndmask_b32_e32 v2, v2, v3, vcc_lo
	ds_write_b32 v1, v2
.LBB12_74:
	s_or_b32 exec_lo, exec_lo, s0
	v_cmp_eq_u32_e32 vcc_lo, 0, v0
	s_waitcnt lgkmcnt(0)
	s_barrier
	buffer_gl0_inv
	s_and_saveexec_b32 s1, vcc_lo
	s_cbranch_execz .LBB12_76
; %bb.75:
	v_mov_b32_e32 v2, 0
	ds_read_b64 v[0:1], v2
	s_waitcnt lgkmcnt(0)
	v_cmp_lt_f32_e64 s0, v0, v1
	v_cndmask_b32_e64 v0, v0, v1, s0
	ds_write_b32 v2, v0
.LBB12_76:
	s_or_b32 exec_lo, exec_lo, s1
	s_waitcnt lgkmcnt(0)
	s_barrier
	buffer_gl0_inv
	s_and_saveexec_b32 s0, vcc_lo
	s_cbranch_execz .LBB12_80
; %bb.77:
	v_mbcnt_lo_u32_b32 v0, exec_lo, 0
	s_mov_b32 s6, 0
	v_cmp_eq_u32_e32 vcc_lo, 0, v0
	s_and_b32 exec_lo, exec_lo, vcc_lo
	s_cbranch_execz .LBB12_80
; %bb.78:
	s_load_dwordx4 s[0:3], s[4:5], 0x88
	v_mov_b32_e32 v2, 0
	ds_read_b32 v0, v2
	s_waitcnt lgkmcnt(0)
	s_load_dword s2, s[2:3], 0x0
	s_load_dword s3, s[0:1], 0x0
	s_waitcnt lgkmcnt(0)
	v_div_scale_f32 v1, null, s2, s2, v0
	v_rcp_f32_e32 v3, v1
	v_fma_f32 v4, -v1, v3, 1.0
	v_fmac_f32_e32 v3, v4, v3
	v_div_scale_f32 v4, vcc_lo, v0, s2, v0
	v_mul_f32_e32 v5, v4, v3
	v_fma_f32 v6, -v1, v5, v4
	v_fmac_f32_e32 v5, v6, v3
	v_fma_f32 v1, -v1, v5, v4
	v_div_fmas_f32 v1, v1, v3, v5
	v_div_fixup_f32 v0, v1, s2, v0
	v_mov_b32_e32 v1, s3
	v_max_f32_e32 v3, v0, v0
.LBB12_79:                              ; =>This Inner Loop Header: Depth=1
	v_max_f32_e32 v0, v1, v1
	v_max_f32_e32 v0, v0, v3
	global_atomic_cmpswap v0, v2, v[0:1], s[0:1] glc
	s_waitcnt vmcnt(0)
	v_cmp_eq_u32_e32 vcc_lo, v0, v1
	v_mov_b32_e32 v1, v0
	s_or_b32 s6, vcc_lo, s6
	s_andn2_b32 exec_lo, exec_lo, s6
	s_cbranch_execnz .LBB12_79
.LBB12_80:
	s_endpgm
	.section	.rodata,"a",@progbits
	.p2align	6, 0x0
	.amdhsa_kernel _ZN9rocsparseL17kernel_correctionILi1024ELi32EfiiEEvT3_T2_PKS2_S4_PKS1_PKT1_21rocsparse_index_base_S4_S4_S6_PS7_SA_S4_S4_S6_SB_SA_SB_PNS_15floating_traitsIS7_E6data_tEPKSE_
		.amdhsa_group_segment_fixed_size 128
		.amdhsa_private_segment_fixed_size 0
		.amdhsa_kernarg_size 152
		.amdhsa_user_sgpr_count 6
		.amdhsa_user_sgpr_private_segment_buffer 1
		.amdhsa_user_sgpr_dispatch_ptr 0
		.amdhsa_user_sgpr_queue_ptr 0
		.amdhsa_user_sgpr_kernarg_segment_ptr 1
		.amdhsa_user_sgpr_dispatch_id 0
		.amdhsa_user_sgpr_flat_scratch_init 0
		.amdhsa_user_sgpr_private_segment_size 0
		.amdhsa_wavefront_size32 1
		.amdhsa_uses_dynamic_stack 0
		.amdhsa_system_sgpr_private_segment_wavefront_offset 0
		.amdhsa_system_sgpr_workgroup_id_x 1
		.amdhsa_system_sgpr_workgroup_id_y 0
		.amdhsa_system_sgpr_workgroup_id_z 0
		.amdhsa_system_sgpr_workgroup_info 0
		.amdhsa_system_vgpr_workitem_id 0
		.amdhsa_next_free_vgpr 38
		.amdhsa_next_free_sgpr 51
		.amdhsa_reserve_vcc 1
		.amdhsa_reserve_flat_scratch 0
		.amdhsa_float_round_mode_32 0
		.amdhsa_float_round_mode_16_64 0
		.amdhsa_float_denorm_mode_32 3
		.amdhsa_float_denorm_mode_16_64 3
		.amdhsa_dx10_clamp 1
		.amdhsa_ieee_mode 1
		.amdhsa_fp16_overflow 0
		.amdhsa_workgroup_processor_mode 1
		.amdhsa_memory_ordered 1
		.amdhsa_forward_progress 1
		.amdhsa_shared_vgpr_count 0
		.amdhsa_exception_fp_ieee_invalid_op 0
		.amdhsa_exception_fp_denorm_src 0
		.amdhsa_exception_fp_ieee_div_zero 0
		.amdhsa_exception_fp_ieee_overflow 0
		.amdhsa_exception_fp_ieee_underflow 0
		.amdhsa_exception_fp_ieee_inexact 0
		.amdhsa_exception_int_div_zero 0
	.end_amdhsa_kernel
	.section	.text._ZN9rocsparseL17kernel_correctionILi1024ELi32EfiiEEvT3_T2_PKS2_S4_PKS1_PKT1_21rocsparse_index_base_S4_S4_S6_PS7_SA_S4_S4_S6_SB_SA_SB_PNS_15floating_traitsIS7_E6data_tEPKSE_,"axG",@progbits,_ZN9rocsparseL17kernel_correctionILi1024ELi32EfiiEEvT3_T2_PKS2_S4_PKS1_PKT1_21rocsparse_index_base_S4_S4_S6_PS7_SA_S4_S4_S6_SB_SA_SB_PNS_15floating_traitsIS7_E6data_tEPKSE_,comdat
.Lfunc_end12:
	.size	_ZN9rocsparseL17kernel_correctionILi1024ELi32EfiiEEvT3_T2_PKS2_S4_PKS1_PKT1_21rocsparse_index_base_S4_S4_S6_PS7_SA_S4_S4_S6_SB_SA_SB_PNS_15floating_traitsIS7_E6data_tEPKSE_, .Lfunc_end12-_ZN9rocsparseL17kernel_correctionILi1024ELi32EfiiEEvT3_T2_PKS2_S4_PKS1_PKT1_21rocsparse_index_base_S4_S4_S6_PS7_SA_S4_S4_S6_SB_SA_SB_PNS_15floating_traitsIS7_E6data_tEPKSE_
                                        ; -- End function
	.set _ZN9rocsparseL17kernel_correctionILi1024ELi32EfiiEEvT3_T2_PKS2_S4_PKS1_PKT1_21rocsparse_index_base_S4_S4_S6_PS7_SA_S4_S4_S6_SB_SA_SB_PNS_15floating_traitsIS7_E6data_tEPKSE_.num_vgpr, 38
	.set _ZN9rocsparseL17kernel_correctionILi1024ELi32EfiiEEvT3_T2_PKS2_S4_PKS1_PKT1_21rocsparse_index_base_S4_S4_S6_PS7_SA_S4_S4_S6_SB_SA_SB_PNS_15floating_traitsIS7_E6data_tEPKSE_.num_agpr, 0
	.set _ZN9rocsparseL17kernel_correctionILi1024ELi32EfiiEEvT3_T2_PKS2_S4_PKS1_PKT1_21rocsparse_index_base_S4_S4_S6_PS7_SA_S4_S4_S6_SB_SA_SB_PNS_15floating_traitsIS7_E6data_tEPKSE_.numbered_sgpr, 51
	.set _ZN9rocsparseL17kernel_correctionILi1024ELi32EfiiEEvT3_T2_PKS2_S4_PKS1_PKT1_21rocsparse_index_base_S4_S4_S6_PS7_SA_S4_S4_S6_SB_SA_SB_PNS_15floating_traitsIS7_E6data_tEPKSE_.num_named_barrier, 0
	.set _ZN9rocsparseL17kernel_correctionILi1024ELi32EfiiEEvT3_T2_PKS2_S4_PKS1_PKT1_21rocsparse_index_base_S4_S4_S6_PS7_SA_S4_S4_S6_SB_SA_SB_PNS_15floating_traitsIS7_E6data_tEPKSE_.private_seg_size, 0
	.set _ZN9rocsparseL17kernel_correctionILi1024ELi32EfiiEEvT3_T2_PKS2_S4_PKS1_PKT1_21rocsparse_index_base_S4_S4_S6_PS7_SA_S4_S4_S6_SB_SA_SB_PNS_15floating_traitsIS7_E6data_tEPKSE_.uses_vcc, 1
	.set _ZN9rocsparseL17kernel_correctionILi1024ELi32EfiiEEvT3_T2_PKS2_S4_PKS1_PKT1_21rocsparse_index_base_S4_S4_S6_PS7_SA_S4_S4_S6_SB_SA_SB_PNS_15floating_traitsIS7_E6data_tEPKSE_.uses_flat_scratch, 0
	.set _ZN9rocsparseL17kernel_correctionILi1024ELi32EfiiEEvT3_T2_PKS2_S4_PKS1_PKT1_21rocsparse_index_base_S4_S4_S6_PS7_SA_S4_S4_S6_SB_SA_SB_PNS_15floating_traitsIS7_E6data_tEPKSE_.has_dyn_sized_stack, 0
	.set _ZN9rocsparseL17kernel_correctionILi1024ELi32EfiiEEvT3_T2_PKS2_S4_PKS1_PKT1_21rocsparse_index_base_S4_S4_S6_PS7_SA_S4_S4_S6_SB_SA_SB_PNS_15floating_traitsIS7_E6data_tEPKSE_.has_recursion, 0
	.set _ZN9rocsparseL17kernel_correctionILi1024ELi32EfiiEEvT3_T2_PKS2_S4_PKS1_PKT1_21rocsparse_index_base_S4_S4_S6_PS7_SA_S4_S4_S6_SB_SA_SB_PNS_15floating_traitsIS7_E6data_tEPKSE_.has_indirect_call, 0
	.section	.AMDGPU.csdata,"",@progbits
; Kernel info:
; codeLenInByte = 3056
; TotalNumSgprs: 53
; NumVgprs: 38
; ScratchSize: 0
; MemoryBound: 0
; FloatMode: 240
; IeeeMode: 1
; LDSByteSize: 128 bytes/workgroup (compile time only)
; SGPRBlocks: 0
; VGPRBlocks: 4
; NumSGPRsForWavesPerEU: 53
; NumVGPRsForWavesPerEU: 38
; Occupancy: 16
; WaveLimiterHint : 1
; COMPUTE_PGM_RSRC2:SCRATCH_EN: 0
; COMPUTE_PGM_RSRC2:USER_SGPR: 6
; COMPUTE_PGM_RSRC2:TRAP_HANDLER: 0
; COMPUTE_PGM_RSRC2:TGID_X_EN: 1
; COMPUTE_PGM_RSRC2:TGID_Y_EN: 0
; COMPUTE_PGM_RSRC2:TGID_Z_EN: 0
; COMPUTE_PGM_RSRC2:TIDIG_COMP_CNT: 0
	.section	.text._ZN9rocsparseL17kernel_correctionILi1024ELi64EfiiEEvT3_T2_PKS2_S4_PKS1_PKT1_21rocsparse_index_base_S4_S4_S6_PS7_SA_S4_S4_S6_SB_SA_SB_PNS_15floating_traitsIS7_E6data_tEPKSE_,"axG",@progbits,_ZN9rocsparseL17kernel_correctionILi1024ELi64EfiiEEvT3_T2_PKS2_S4_PKS1_PKT1_21rocsparse_index_base_S4_S4_S6_PS7_SA_S4_S4_S6_SB_SA_SB_PNS_15floating_traitsIS7_E6data_tEPKSE_,comdat
	.globl	_ZN9rocsparseL17kernel_correctionILi1024ELi64EfiiEEvT3_T2_PKS2_S4_PKS1_PKT1_21rocsparse_index_base_S4_S4_S6_PS7_SA_S4_S4_S6_SB_SA_SB_PNS_15floating_traitsIS7_E6data_tEPKSE_ ; -- Begin function _ZN9rocsparseL17kernel_correctionILi1024ELi64EfiiEEvT3_T2_PKS2_S4_PKS1_PKT1_21rocsparse_index_base_S4_S4_S6_PS7_SA_S4_S4_S6_SB_SA_SB_PNS_15floating_traitsIS7_E6data_tEPKSE_
	.p2align	8
	.type	_ZN9rocsparseL17kernel_correctionILi1024ELi64EfiiEEvT3_T2_PKS2_S4_PKS1_PKT1_21rocsparse_index_base_S4_S4_S6_PS7_SA_S4_S4_S6_SB_SA_SB_PNS_15floating_traitsIS7_E6data_tEPKSE_,@function
_ZN9rocsparseL17kernel_correctionILi1024ELi64EfiiEEvT3_T2_PKS2_S4_PKS1_PKT1_21rocsparse_index_base_S4_S4_S6_PS7_SA_S4_S4_S6_SB_SA_SB_PNS_15floating_traitsIS7_E6data_tEPKSE_: ; @_ZN9rocsparseL17kernel_correctionILi1024ELi64EfiiEEvT3_T2_PKS2_S4_PKS1_PKT1_21rocsparse_index_base_S4_S4_S6_PS7_SA_S4_S4_S6_SB_SA_SB_PNS_15floating_traitsIS7_E6data_tEPKSE_
; %bb.0:
	s_load_dword s33, s[4:5], 0x0
	v_lshrrev_b32_e32 v19, 6, v0
	s_lshl_b32 s35, s6, 10
	v_and_b32_e32 v20, 63, v0
	v_mov_b32_e32 v21, 0
	s_mov_b32 s3, exec_lo
	v_or_b32_e32 v1, s35, v19
	s_waitcnt lgkmcnt(0)
	v_cmpx_gt_i32_e64 s33, v1
	s_cbranch_execz .LBB13_64
; %bb.1:
	v_mov_b32_e32 v21, 0
	s_addk_i32 s35, 0x400
	s_mov_b32 s34, exec_lo
	v_cmpx_gt_u32_e64 s35, v1
	s_cbranch_execz .LBB13_63
; %bb.2:
	s_clause 0x6
	s_load_dword s36, s[4:5], 0x28
	s_load_dwordx8 s[8:15], s[4:5], 0x58
	s_load_dwordx8 s[16:23], s[4:5], 0x30
	s_load_dwordx8 s[24:31], s[4:5], 0x8
	s_load_dword s37, s[4:5], 0x50
	s_load_dwordx2 s[6:7], s[4:5], 0x80
	s_load_dword s38, s[4:5], 0x78
	v_mov_b32_e32 v3, 0
	v_mov_b32_e32 v21, 0
	s_mov_b32 s39, 0
	s_waitcnt lgkmcnt(0)
	v_subrev_nc_u32_e32 v22, s36, v20
	s_branch .LBB13_6
.LBB13_3:                               ;   in Loop: Header=BB13_6 Depth=1
	s_or_b32 exec_lo, exec_lo, s42
.LBB13_4:                               ;   in Loop: Header=BB13_6 Depth=1
	s_or_b32 exec_lo, exec_lo, s41
.LBB13_5:                               ;   in Loop: Header=BB13_6 Depth=1
	s_or_b32 exec_lo, exec_lo, s40
	v_add_nc_u32_e32 v1, 16, v1
	v_cmp_le_u32_e32 vcc_lo, s35, v1
	s_or_b32 s39, vcc_lo, s39
	s_andn2_b32 exec_lo, exec_lo, s39
	s_cbranch_execz .LBB13_62
.LBB13_6:                               ; =>This Loop Header: Depth=1
                                        ;     Child Loop BB13_10 Depth 2
                                        ;       Child Loop BB13_14 Depth 3
                                        ;       Child Loop BB13_27 Depth 3
	;; [unrolled: 1-line block ×5, first 2 shown]
	s_mov_b32 s40, exec_lo
	v_cmpx_gt_i32_e64 s33, v1
	s_cbranch_execz .LBB13_5
; %bb.7:                                ;   in Loop: Header=BB13_6 Depth=1
	v_ashrrev_i32_e32 v2, 31, v1
	s_mov_b32 s41, exec_lo
	v_lshlrev_b64 v[5:6], 2, v[1:2]
	v_add_co_u32 v7, vcc_lo, s24, v5
	v_add_co_ci_u32_e64 v8, null, s25, v6, vcc_lo
	v_add_co_u32 v9, vcc_lo, s26, v5
	v_add_co_ci_u32_e64 v10, null, s27, v6, vcc_lo
	global_load_dword v2, v[7:8], off
	global_load_dword v7, v[9:10], off
	s_waitcnt vmcnt(1)
	v_add_nc_u32_e32 v4, v22, v2
	s_waitcnt vmcnt(0)
	v_subrev_nc_u32_e32 v23, s36, v7
	v_cmpx_lt_i32_e64 v4, v23
	s_cbranch_execz .LBB13_4
; %bb.8:                                ;   in Loop: Header=BB13_6 Depth=1
	v_add_co_u32 v7, vcc_lo, s16, v5
	v_add_co_ci_u32_e64 v8, null, s17, v6, vcc_lo
	v_add_co_u32 v5, vcc_lo, s18, v5
	v_add_co_ci_u32_e64 v6, null, s19, v6, vcc_lo
	global_load_dword v2, v[7:8], off
	s_mov_b32 s42, 0
	global_load_dword v5, v[5:6], off
	s_waitcnt vmcnt(1)
	v_subrev_nc_u32_e32 v6, s37, v2
	s_waitcnt vmcnt(0)
	v_sub_nc_u32_e32 v24, v5, v2
	v_ashrrev_i32_e32 v7, 31, v6
	v_cmp_lt_i32_e64 s0, 0, v24
	v_lshlrev_b64 v[7:8], 2, v[6:7]
	v_add_co_u32 v25, vcc_lo, s20, v7
	v_add_co_ci_u32_e64 v26, null, s21, v8, vcc_lo
	v_add_co_u32 v27, vcc_lo, s22, v7
	v_add_co_ci_u32_e64 v28, null, s23, v8, vcc_lo
	s_branch .LBB13_10
.LBB13_9:                               ;   in Loop: Header=BB13_10 Depth=2
	s_or_b32 exec_lo, exec_lo, s2
	v_sub_f32_e32 v2, v15, v5
	v_add_nc_u32_e32 v4, 64, v4
	v_cmp_nlg_f32_e64 s1, 0x7f800000, |v2|
	v_cmp_gt_f32_e64 s2, v21, |v2|
	v_cmp_ge_i32_e32 vcc_lo, v4, v23
	s_or_b32 s1, s1, s2
	s_or_b32 s42, vcc_lo, s42
	v_cndmask_b32_e64 v21, |v2|, v21, s1
	s_andn2_b32 exec_lo, exec_lo, s42
	s_cbranch_execz .LBB13_3
.LBB13_10:                              ;   Parent Loop BB13_6 Depth=1
                                        ; =>  This Loop Header: Depth=2
                                        ;       Child Loop BB13_14 Depth 3
                                        ;       Child Loop BB13_27 Depth 3
	;; [unrolled: 1-line block ×5, first 2 shown]
	v_ashrrev_i32_e32 v5, 31, v4
	v_lshlrev_b64 v[13:14], 2, v[4:5]
	v_mov_b32_e32 v5, 0
	v_add_co_u32 v7, vcc_lo, s28, v13
	v_add_co_ci_u32_e64 v8, null, s29, v14, vcc_lo
	global_load_dword v2, v[7:8], off
	s_waitcnt vmcnt(0)
	v_subrev_nc_u32_e32 v7, s36, v2
	v_ashrrev_i32_e32 v8, 31, v7
	v_lshlrev_b64 v[11:12], 2, v[7:8]
	v_add_co_u32 v8, vcc_lo, s8, v11
	v_add_co_ci_u32_e64 v9, null, s9, v12, vcc_lo
	v_add_co_u32 v15, vcc_lo, s10, v11
	v_add_co_ci_u32_e64 v16, null, s11, v12, vcc_lo
	global_load_dword v2, v[8:9], off
	global_load_dword v10, v[15:16], off
	v_mov_b32_e32 v9, 0
	s_waitcnt vmcnt(1)
	v_subrev_nc_u32_e32 v8, s38, v2
	s_waitcnt vmcnt(0)
	v_sub_nc_u32_e32 v29, v10, v2
	v_mov_b32_e32 v2, v9
	s_and_saveexec_b32 s2, s0
	s_cbranch_execz .LBB13_18
; %bb.11:                               ;   in Loop: Header=BB13_10 Depth=2
	v_ashrrev_i32_e32 v9, 31, v8
	v_mov_b32_e32 v5, 0
	v_mov_b32_e32 v2, 0
	s_mov_b32 s43, 0
                                        ; implicit-def: $sgpr44
	v_lshlrev_b64 v[9:10], 2, v[8:9]
	v_add_co_u32 v30, vcc_lo, s12, v9
	v_add_co_ci_u32_e64 v31, null, s13, v10, vcc_lo
	v_add_co_u32 v32, vcc_lo, s14, v9
	v_add_co_ci_u32_e64 v33, null, s15, v10, vcc_lo
	v_mov_b32_e32 v9, 0
	s_branch .LBB13_14
.LBB13_12:                              ;   in Loop: Header=BB13_14 Depth=3
	s_or_b32 exec_lo, exec_lo, s1
	v_cmp_le_i32_e32 vcc_lo, v10, v34
	v_cmp_ge_i32_e64 s1, v10, v34
	v_add_co_ci_u32_e64 v2, null, 0, v2, vcc_lo
	v_add_co_ci_u32_e64 v9, null, 0, v9, s1
	s_andn2_b32 s1, s44, exec_lo
	v_cmp_ge_i32_e32 vcc_lo, v2, v24
	s_and_b32 s44, vcc_lo, exec_lo
	s_or_b32 s44, s1, s44
.LBB13_13:                              ;   in Loop: Header=BB13_14 Depth=3
	s_or_b32 exec_lo, exec_lo, s45
	s_and_b32 s1, exec_lo, s44
	s_or_b32 s43, s1, s43
	s_andn2_b32 exec_lo, exec_lo, s43
	s_cbranch_execz .LBB13_17
.LBB13_14:                              ;   Parent Loop BB13_6 Depth=1
                                        ;     Parent Loop BB13_10 Depth=2
                                        ; =>    This Inner Loop Header: Depth=3
	s_or_b32 s44, s44, exec_lo
	s_mov_b32 s45, exec_lo
	v_cmpx_lt_i32_e64 v9, v29
	s_cbranch_execz .LBB13_13
; %bb.15:                               ;   in Loop: Header=BB13_14 Depth=3
	v_mov_b32_e32 v10, v3
	v_lshlrev_b64 v[17:18], 2, v[2:3]
	s_mov_b32 s1, exec_lo
	v_lshlrev_b64 v[15:16], 2, v[9:10]
	v_add_co_u32 v34, vcc_lo, v25, v17
	v_add_co_ci_u32_e64 v35, null, v26, v18, vcc_lo
	v_add_co_u32 v36, vcc_lo, v30, v15
	v_add_co_ci_u32_e64 v37, null, v31, v16, vcc_lo
	global_load_dword v10, v[34:35], off
	global_load_dword v34, v[36:37], off
	s_waitcnt vmcnt(1)
	v_subrev_nc_u32_e32 v10, s37, v10
	s_waitcnt vmcnt(0)
	v_subrev_nc_u32_e32 v34, s38, v34
	v_cmpx_eq_u32_e64 v10, v34
	s_cbranch_execz .LBB13_12
; %bb.16:                               ;   in Loop: Header=BB13_14 Depth=3
	v_add_co_u32 v17, vcc_lo, v27, v17
	v_add_co_ci_u32_e64 v18, null, v28, v18, vcc_lo
	v_add_co_u32 v15, vcc_lo, v32, v15
	v_add_co_ci_u32_e64 v16, null, v33, v16, vcc_lo
	global_load_dword v17, v[17:18], off
	global_load_dword v15, v[15:16], off
	s_waitcnt vmcnt(0)
	v_fmac_f32_e32 v5, v17, v15
	s_branch .LBB13_12
.LBB13_17:                              ;   in Loop: Header=BB13_10 Depth=2
	s_or_b32 exec_lo, exec_lo, s43
.LBB13_18:                              ;   in Loop: Header=BB13_10 Depth=2
	s_or_b32 exec_lo, exec_lo, s2
	v_add_co_u32 v13, vcc_lo, s30, v13
	v_add_co_ci_u32_e64 v14, null, s31, v14, vcc_lo
	v_cmp_le_i32_e64 s1, v1, v7
	s_mov_b32 s2, exec_lo
	global_load_dword v15, v[13:14], off
	s_waitcnt vmcnt(0)
	v_sub_f32_e32 v16, v15, v5
	v_cmpx_gt_i32_e64 v1, v7
	s_cbranch_execz .LBB13_20
; %bb.19:                               ;   in Loop: Header=BB13_10 Depth=2
	v_add_co_u32 v13, vcc_lo, s6, v11
	v_add_co_ci_u32_e64 v14, null, s7, v12, vcc_lo
	global_load_dword v10, v[13:14], off
	s_waitcnt vmcnt(0)
	v_div_scale_f32 v13, null, v10, v10, v16
	v_rcp_f32_e32 v14, v13
	v_fma_f32 v17, -v13, v14, 1.0
	v_fmac_f32_e32 v14, v17, v14
	v_div_scale_f32 v17, vcc_lo, v16, v10, v16
	v_mul_f32_e32 v18, v17, v14
	v_fma_f32 v30, -v13, v18, v17
	v_fmac_f32_e32 v18, v30, v14
	v_fma_f32 v13, -v13, v18, v17
	v_div_fmas_f32 v13, v13, v14, v18
	v_div_fixup_f32 v16, v13, v10, v16
.LBB13_20:                              ;   in Loop: Header=BB13_10 Depth=2
	s_or_b32 exec_lo, exec_lo, s2
	s_mov_b32 s43, exec_lo
	v_cmp_lt_i32_e32 vcc_lo, v9, v29
	v_cmpx_ge_i32_e64 v9, v29
	s_xor_b32 s43, exec_lo, s43
	s_cbranch_execnz .LBB13_24
; %bb.21:                               ;   in Loop: Header=BB13_10 Depth=2
	s_andn2_saveexec_b32 s43, s43
	s_cbranch_execnz .LBB13_33
.LBB13_22:                              ;   in Loop: Header=BB13_10 Depth=2
	s_or_b32 exec_lo, exec_lo, s43
	s_mov_b32 s43, exec_lo
	v_cmpx_eq_u32_e64 v1, v7
	s_cbranch_execnz .LBB13_40
.LBB13_23:                              ;   in Loop: Header=BB13_10 Depth=2
	s_or_b32 exec_lo, exec_lo, s43
	v_cmp_class_f32_e64 s43, v16, 0x1f8
	s_and_saveexec_b32 s2, s43
	s_cbranch_execz .LBB13_9
	s_branch .LBB13_41
.LBB13_24:                              ;   in Loop: Header=BB13_10 Depth=2
	s_mov_b32 s44, exec_lo
	v_cmpx_lt_i32_e64 v2, v24
	s_cbranch_execz .LBB13_32
; %bb.25:                               ;   in Loop: Header=BB13_10 Depth=2
	v_mov_b32_e32 v10, v2
	s_mov_b32 s45, 0
                                        ; implicit-def: $sgpr46
                                        ; implicit-def: $sgpr48
                                        ; implicit-def: $sgpr47
	s_inst_prefetch 0x1
	s_branch .LBB13_27
	.p2align	6
.LBB13_26:                              ;   in Loop: Header=BB13_27 Depth=3
	s_or_b32 exec_lo, exec_lo, s49
	s_and_b32 s2, exec_lo, s48
	s_or_b32 s45, s2, s45
	s_andn2_b32 s2, s46, exec_lo
	s_and_b32 s46, s47, exec_lo
	s_or_b32 s46, s2, s46
	s_andn2_b32 exec_lo, exec_lo, s45
	s_cbranch_execz .LBB13_29
.LBB13_27:                              ;   Parent Loop BB13_6 Depth=1
                                        ;     Parent Loop BB13_10 Depth=2
                                        ; =>    This Inner Loop Header: Depth=3
	v_add_nc_u32_e32 v13, v6, v10
	s_or_b32 s47, s47, exec_lo
	s_or_b32 s48, s48, exec_lo
	s_mov_b32 s49, exec_lo
	v_ashrrev_i32_e32 v14, 31, v13
	v_lshlrev_b64 v[13:14], 2, v[13:14]
	v_add_co_u32 v17, s2, s20, v13
	v_add_co_ci_u32_e64 v18, null, s21, v14, s2
	global_load_dword v17, v[17:18], off
	s_waitcnt vmcnt(0)
	v_subrev_nc_u32_e32 v17, s37, v17
	v_cmpx_ne_u32_e64 v17, v7
	s_cbranch_execz .LBB13_26
; %bb.28:                               ;   in Loop: Header=BB13_27 Depth=3
	v_add_nc_u32_e32 v10, 1, v10
	s_andn2_b32 s48, s48, exec_lo
	s_andn2_b32 s47, s47, exec_lo
	v_cmp_ge_i32_e64 s2, v10, v24
	s_and_b32 s2, s2, exec_lo
	s_or_b32 s48, s48, s2
	s_branch .LBB13_26
.LBB13_29:                              ;   in Loop: Header=BB13_10 Depth=2
	s_inst_prefetch 0x2
	s_or_b32 exec_lo, exec_lo, s45
	s_and_saveexec_b32 s2, s46
	s_xor_b32 s45, exec_lo, s2
	s_cbranch_execz .LBB13_31
; %bb.30:                               ;   in Loop: Header=BB13_10 Depth=2
	v_add_co_u32 v13, s2, s22, v13
	v_add_co_ci_u32_e64 v14, null, s23, v14, s2
	v_add_co_u32 v17, s2, s6, v11
	v_add_co_ci_u32_e64 v18, null, s7, v12, s2
	global_load_dword v10, v[13:14], off
	global_load_dword v13, v[17:18], off
	s_waitcnt vmcnt(0)
	v_fmac_f32_e32 v5, v10, v13
.LBB13_31:                              ;   in Loop: Header=BB13_10 Depth=2
	s_or_b32 exec_lo, exec_lo, s45
.LBB13_32:                              ;   in Loop: Header=BB13_10 Depth=2
	s_or_b32 exec_lo, exec_lo, s44
	s_andn2_saveexec_b32 s43, s43
	s_cbranch_execz .LBB13_22
.LBB13_33:                              ;   in Loop: Header=BB13_10 Depth=2
	v_mov_b32_e32 v10, v9
	s_mov_b32 s44, 0
                                        ; implicit-def: $sgpr45
                                        ; implicit-def: $sgpr47
                                        ; implicit-def: $sgpr46
	s_inst_prefetch 0x1
	s_branch .LBB13_35
	.p2align	6
.LBB13_34:                              ;   in Loop: Header=BB13_35 Depth=3
	s_or_b32 exec_lo, exec_lo, s48
	s_and_b32 s2, exec_lo, s47
	s_or_b32 s44, s2, s44
	s_andn2_b32 s2, s45, exec_lo
	s_and_b32 s45, s46, exec_lo
	s_or_b32 s45, s2, s45
	s_andn2_b32 exec_lo, exec_lo, s44
	s_cbranch_execz .LBB13_37
.LBB13_35:                              ;   Parent Loop BB13_6 Depth=1
                                        ;     Parent Loop BB13_10 Depth=2
                                        ; =>    This Inner Loop Header: Depth=3
	v_add_nc_u32_e32 v13, v8, v10
	s_or_b32 s46, s46, exec_lo
	s_or_b32 s47, s47, exec_lo
	s_mov_b32 s48, exec_lo
	v_ashrrev_i32_e32 v14, 31, v13
	v_lshlrev_b64 v[13:14], 2, v[13:14]
	v_add_co_u32 v17, s2, s12, v13
	v_add_co_ci_u32_e64 v18, null, s13, v14, s2
	global_load_dword v17, v[17:18], off
	s_waitcnt vmcnt(0)
	v_subrev_nc_u32_e32 v17, s38, v17
	v_cmpx_ne_u32_e64 v17, v1
	s_cbranch_execz .LBB13_34
; %bb.36:                               ;   in Loop: Header=BB13_35 Depth=3
	v_add_nc_u32_e32 v10, 1, v10
	s_andn2_b32 s47, s47, exec_lo
	s_andn2_b32 s46, s46, exec_lo
	v_cmp_ge_i32_e64 s2, v10, v29
	s_and_b32 s2, s2, exec_lo
	s_or_b32 s47, s47, s2
	s_branch .LBB13_34
.LBB13_37:                              ;   in Loop: Header=BB13_10 Depth=2
	s_inst_prefetch 0x2
	s_or_b32 exec_lo, exec_lo, s44
	s_and_saveexec_b32 s2, s45
	s_xor_b32 s44, exec_lo, s2
	s_cbranch_execz .LBB13_39
; %bb.38:                               ;   in Loop: Header=BB13_10 Depth=2
	v_add_co_u32 v13, s2, s14, v13
	v_add_co_ci_u32_e64 v14, null, s15, v14, s2
	global_load_dword v10, v[13:14], off
	s_waitcnt vmcnt(0)
	v_add_f32_e32 v5, v5, v10
.LBB13_39:                              ;   in Loop: Header=BB13_10 Depth=2
	s_or_b32 exec_lo, exec_lo, s44
	s_or_b32 exec_lo, exec_lo, s43
	s_mov_b32 s43, exec_lo
	v_cmpx_eq_u32_e64 v1, v7
	s_cbranch_execz .LBB13_23
.LBB13_40:                              ;   in Loop: Header=BB13_10 Depth=2
	v_add_co_u32 v13, s2, s6, v11
	v_add_co_ci_u32_e64 v14, null, s7, v12, s2
	global_load_dword v10, v[13:14], off
	s_waitcnt vmcnt(0)
	v_add_f32_e32 v5, v5, v10
	s_or_b32 exec_lo, exec_lo, s43
	v_cmp_class_f32_e64 s43, v16, 0x1f8
	s_and_saveexec_b32 s2, s43
	s_cbranch_execz .LBB13_9
.LBB13_41:                              ;   in Loop: Header=BB13_10 Depth=2
	s_and_saveexec_b32 s43, s1
	s_xor_b32 s43, exec_lo, s43
	s_cbranch_execz .LBB13_54
; %bb.42:                               ;   in Loop: Header=BB13_10 Depth=2
	s_mov_b32 s44, exec_lo
	v_cmpx_ge_i32_e64 v1, v7
	s_xor_b32 s44, exec_lo, s44
	s_cbranch_execz .LBB13_44
; %bb.43:                               ;   in Loop: Header=BB13_10 Depth=2
	v_add_co_u32 v7, s1, s6, v11
	v_add_co_ci_u32_e64 v8, null, s7, v12, s1
                                        ; implicit-def: $vgpr9
                                        ; implicit-def: $vgpr29
	global_store_dword v[7:8], v16, off
                                        ; implicit-def: $vgpr16
                                        ; implicit-def: $vgpr8
.LBB13_44:                              ;   in Loop: Header=BB13_10 Depth=2
	s_andn2_saveexec_b32 s1, s44
	s_cbranch_execz .LBB13_53
; %bb.45:                               ;   in Loop: Header=BB13_10 Depth=2
	s_and_saveexec_b32 s44, vcc_lo
	s_cbranch_execz .LBB13_52
; %bb.46:                               ;   in Loop: Header=BB13_10 Depth=2
	s_mov_b32 s45, 0
                                        ; implicit-def: $sgpr46
                                        ; implicit-def: $sgpr48
                                        ; implicit-def: $sgpr47
	s_inst_prefetch 0x1
	s_branch .LBB13_48
	.p2align	6
.LBB13_47:                              ;   in Loop: Header=BB13_48 Depth=3
	s_or_b32 exec_lo, exec_lo, s49
	s_and_b32 s49, exec_lo, s48
	s_or_b32 s45, s49, s45
	s_andn2_b32 s46, s46, exec_lo
	s_and_b32 s49, s47, exec_lo
	s_or_b32 s46, s46, s49
	s_andn2_b32 exec_lo, exec_lo, s45
	s_cbranch_execz .LBB13_50
.LBB13_48:                              ;   Parent Loop BB13_6 Depth=1
                                        ;     Parent Loop BB13_10 Depth=2
                                        ; =>    This Inner Loop Header: Depth=3
	v_add_nc_u32_e32 v10, v8, v9
	s_or_b32 s47, s47, exec_lo
	s_or_b32 s48, s48, exec_lo
	s_mov_b32 s49, exec_lo
	v_ashrrev_i32_e32 v11, 31, v10
	v_lshlrev_b64 v[10:11], 2, v[10:11]
	v_add_co_u32 v12, vcc_lo, s12, v10
	v_add_co_ci_u32_e64 v13, null, s13, v11, vcc_lo
	global_load_dword v2, v[12:13], off
	s_waitcnt vmcnt(0)
	v_subrev_nc_u32_e32 v2, s38, v2
	v_cmpx_ne_u32_e64 v2, v1
	s_cbranch_execz .LBB13_47
; %bb.49:                               ;   in Loop: Header=BB13_48 Depth=3
	v_add_nc_u32_e32 v9, 1, v9
	s_andn2_b32 s48, s48, exec_lo
	s_andn2_b32 s47, s47, exec_lo
	v_cmp_ge_i32_e32 vcc_lo, v9, v29
	s_and_b32 s50, vcc_lo, exec_lo
	s_or_b32 s48, s48, s50
	s_branch .LBB13_47
.LBB13_50:                              ;   in Loop: Header=BB13_10 Depth=2
	s_inst_prefetch 0x2
	s_or_b32 exec_lo, exec_lo, s45
	s_and_saveexec_b32 s45, s46
	s_xor_b32 s45, exec_lo, s45
	s_cbranch_execz .LBB13_52
; %bb.51:                               ;   in Loop: Header=BB13_10 Depth=2
	v_add_co_u32 v7, vcc_lo, s14, v10
	v_add_co_ci_u32_e64 v8, null, s15, v11, vcc_lo
	global_store_dword v[7:8], v16, off
.LBB13_52:                              ;   in Loop: Header=BB13_10 Depth=2
	s_or_b32 exec_lo, exec_lo, s44
.LBB13_53:                              ;   in Loop: Header=BB13_10 Depth=2
	s_or_b32 exec_lo, exec_lo, s1
                                        ; implicit-def: $vgpr16
                                        ; implicit-def: $vgpr7_vgpr8
.LBB13_54:                              ;   in Loop: Header=BB13_10 Depth=2
	s_andn2_saveexec_b32 s1, s43
	s_cbranch_execz .LBB13_9
; %bb.55:                               ;   in Loop: Header=BB13_10 Depth=2
	v_cmp_lt_i32_e32 vcc_lo, v2, v24
	s_and_b32 exec_lo, exec_lo, vcc_lo
	s_cbranch_execz .LBB13_9
; %bb.56:                               ;   in Loop: Header=BB13_10 Depth=2
	s_mov_b32 s1, 0
                                        ; implicit-def: $sgpr43
                                        ; implicit-def: $sgpr45
                                        ; implicit-def: $sgpr44
	s_inst_prefetch 0x1
	s_branch .LBB13_58
	.p2align	6
.LBB13_57:                              ;   in Loop: Header=BB13_58 Depth=3
	s_or_b32 exec_lo, exec_lo, s46
	s_and_b32 s46, exec_lo, s45
	s_or_b32 s1, s46, s1
	s_andn2_b32 s43, s43, exec_lo
	s_and_b32 s46, s44, exec_lo
	s_or_b32 s43, s43, s46
	s_andn2_b32 exec_lo, exec_lo, s1
	s_cbranch_execz .LBB13_60
.LBB13_58:                              ;   Parent Loop BB13_6 Depth=1
                                        ;     Parent Loop BB13_10 Depth=2
                                        ; =>    This Inner Loop Header: Depth=3
	v_add_nc_u32_e32 v8, v6, v2
	s_or_b32 s44, s44, exec_lo
	s_or_b32 s45, s45, exec_lo
	s_mov_b32 s46, exec_lo
	v_ashrrev_i32_e32 v9, 31, v8
	v_lshlrev_b64 v[8:9], 2, v[8:9]
	v_add_co_u32 v10, vcc_lo, s20, v8
	v_add_co_ci_u32_e64 v11, null, s21, v9, vcc_lo
	global_load_dword v10, v[10:11], off
	s_waitcnt vmcnt(0)
	v_subrev_nc_u32_e32 v10, s37, v10
	v_cmpx_ne_u32_e64 v10, v7
	s_cbranch_execz .LBB13_57
; %bb.59:                               ;   in Loop: Header=BB13_58 Depth=3
	v_add_nc_u32_e32 v2, 1, v2
	s_andn2_b32 s45, s45, exec_lo
	s_andn2_b32 s44, s44, exec_lo
	v_cmp_ge_i32_e32 vcc_lo, v2, v24
	s_and_b32 s47, vcc_lo, exec_lo
	s_or_b32 s45, s45, s47
	s_branch .LBB13_57
.LBB13_60:                              ;   in Loop: Header=BB13_10 Depth=2
	s_inst_prefetch 0x2
	s_or_b32 exec_lo, exec_lo, s1
	s_and_saveexec_b32 s1, s43
	s_xor_b32 s1, exec_lo, s1
	s_cbranch_execz .LBB13_9
; %bb.61:                               ;   in Loop: Header=BB13_10 Depth=2
	v_add_co_u32 v7, vcc_lo, s22, v8
	v_add_co_ci_u32_e64 v8, null, s23, v9, vcc_lo
	global_store_dword v[7:8], v16, off
	s_branch .LBB13_9
.LBB13_62:
	s_or_b32 exec_lo, exec_lo, s39
.LBB13_63:
	s_or_b32 exec_lo, exec_lo, s34
.LBB13_64:
	s_or_b32 exec_lo, exec_lo, s3
	v_mbcnt_lo_u32_b32 v1, -1, 0
	s_mov_b32 s0, exec_lo
	v_or_b32_e32 v2, 32, v1
	v_xor_b32_e32 v3, 16, v1
	v_xor_b32_e32 v4, 8, v1
	v_cmp_gt_i32_e32 vcc_lo, 32, v2
	v_cndmask_b32_e32 v2, v1, v2, vcc_lo
	v_cmp_gt_i32_e32 vcc_lo, 32, v3
	v_lshlrev_b32_e32 v2, 2, v2
	v_cndmask_b32_e32 v3, v1, v3, vcc_lo
	ds_bpermute_b32 v2, v2, v21
	v_lshlrev_b32_e32 v3, 2, v3
	s_waitcnt lgkmcnt(0)
	v_cmp_lt_f32_e32 vcc_lo, v21, v2
	v_cndmask_b32_e32 v2, v21, v2, vcc_lo
	v_cmp_gt_i32_e32 vcc_lo, 32, v4
	ds_bpermute_b32 v3, v3, v2
	v_cndmask_b32_e32 v4, v1, v4, vcc_lo
	v_lshlrev_b32_e32 v4, 2, v4
	s_waitcnt lgkmcnt(0)
	v_cmp_lt_f32_e32 vcc_lo, v2, v3
	v_cndmask_b32_e32 v2, v2, v3, vcc_lo
	ds_bpermute_b32 v3, v4, v2
	v_xor_b32_e32 v4, 4, v1
	v_cmp_gt_i32_e32 vcc_lo, 32, v4
	v_cndmask_b32_e32 v4, v1, v4, vcc_lo
	v_lshlrev_b32_e32 v4, 2, v4
	s_waitcnt lgkmcnt(0)
	v_cmp_lt_f32_e32 vcc_lo, v2, v3
	v_cndmask_b32_e32 v2, v2, v3, vcc_lo
	ds_bpermute_b32 v3, v4, v2
	v_xor_b32_e32 v4, 2, v1
	v_cmp_gt_i32_e32 vcc_lo, 32, v4
	;; [unrolled: 8-line block ×3, first 2 shown]
	v_cndmask_b32_e32 v4, v1, v4, vcc_lo
	s_waitcnt lgkmcnt(0)
	v_cmp_lt_f32_e32 vcc_lo, v2, v3
	v_cndmask_b32_e32 v1, v2, v3, vcc_lo
	v_lshlrev_b32_e32 v2, 2, v4
	ds_bpermute_b32 v2, v2, v1
	v_cmpx_eq_u32_e32 63, v20
	s_cbranch_execz .LBB13_66
; %bb.65:
	s_waitcnt lgkmcnt(0)
	v_cmp_lt_f32_e32 vcc_lo, v1, v2
	v_lshlrev_b32_e32 v3, 2, v19
	v_cndmask_b32_e32 v1, v1, v2, vcc_lo
	ds_write_b32 v3, v1
.LBB13_66:
	s_or_b32 exec_lo, exec_lo, s0
	v_lshlrev_b32_e32 v1, 2, v0
	s_mov_b32 s0, exec_lo
	s_waitcnt lgkmcnt(0)
	s_waitcnt_vscnt null, 0x0
	s_barrier
	buffer_gl0_inv
	v_cmpx_gt_u32_e32 8, v0
	s_cbranch_execz .LBB13_68
; %bb.67:
	ds_read2_b32 v[2:3], v1 offset1:8
	s_waitcnt lgkmcnt(0)
	v_cmp_lt_f32_e32 vcc_lo, v2, v3
	v_cndmask_b32_e32 v2, v2, v3, vcc_lo
	ds_write_b32 v1, v2
.LBB13_68:
	s_or_b32 exec_lo, exec_lo, s0
	s_mov_b32 s0, exec_lo
	s_waitcnt lgkmcnt(0)
	s_barrier
	buffer_gl0_inv
	v_cmpx_gt_u32_e32 4, v0
	s_cbranch_execz .LBB13_70
; %bb.69:
	ds_read2_b32 v[2:3], v1 offset1:4
	s_waitcnt lgkmcnt(0)
	v_cmp_lt_f32_e32 vcc_lo, v2, v3
	v_cndmask_b32_e32 v2, v2, v3, vcc_lo
	ds_write_b32 v1, v2
.LBB13_70:
	s_or_b32 exec_lo, exec_lo, s0
	s_mov_b32 s0, exec_lo
	s_waitcnt lgkmcnt(0)
	s_barrier
	buffer_gl0_inv
	v_cmpx_gt_u32_e32 2, v0
	s_cbranch_execz .LBB13_72
; %bb.71:
	ds_read2_b32 v[2:3], v1 offset1:2
	s_waitcnt lgkmcnt(0)
	v_cmp_lt_f32_e32 vcc_lo, v2, v3
	v_cndmask_b32_e32 v2, v2, v3, vcc_lo
	ds_write_b32 v1, v2
.LBB13_72:
	s_or_b32 exec_lo, exec_lo, s0
	v_cmp_eq_u32_e32 vcc_lo, 0, v0
	s_waitcnt lgkmcnt(0)
	s_barrier
	buffer_gl0_inv
	s_and_saveexec_b32 s1, vcc_lo
	s_cbranch_execz .LBB13_74
; %bb.73:
	v_mov_b32_e32 v2, 0
	ds_read_b64 v[0:1], v2
	s_waitcnt lgkmcnt(0)
	v_cmp_lt_f32_e64 s0, v0, v1
	v_cndmask_b32_e64 v0, v0, v1, s0
	ds_write_b32 v2, v0
.LBB13_74:
	s_or_b32 exec_lo, exec_lo, s1
	s_waitcnt lgkmcnt(0)
	s_barrier
	buffer_gl0_inv
	s_and_saveexec_b32 s0, vcc_lo
	s_cbranch_execz .LBB13_78
; %bb.75:
	v_mbcnt_lo_u32_b32 v0, exec_lo, 0
	s_mov_b32 s6, 0
	v_cmp_eq_u32_e32 vcc_lo, 0, v0
	s_and_b32 exec_lo, exec_lo, vcc_lo
	s_cbranch_execz .LBB13_78
; %bb.76:
	s_load_dwordx4 s[0:3], s[4:5], 0x88
	v_mov_b32_e32 v2, 0
	ds_read_b32 v0, v2
	s_waitcnt lgkmcnt(0)
	s_load_dword s2, s[2:3], 0x0
	s_load_dword s3, s[0:1], 0x0
	s_waitcnt lgkmcnt(0)
	v_div_scale_f32 v1, null, s2, s2, v0
	v_rcp_f32_e32 v3, v1
	v_fma_f32 v4, -v1, v3, 1.0
	v_fmac_f32_e32 v3, v4, v3
	v_div_scale_f32 v4, vcc_lo, v0, s2, v0
	v_mul_f32_e32 v5, v4, v3
	v_fma_f32 v6, -v1, v5, v4
	v_fmac_f32_e32 v5, v6, v3
	v_fma_f32 v1, -v1, v5, v4
	v_div_fmas_f32 v1, v1, v3, v5
	v_div_fixup_f32 v0, v1, s2, v0
	v_mov_b32_e32 v1, s3
	v_max_f32_e32 v3, v0, v0
.LBB13_77:                              ; =>This Inner Loop Header: Depth=1
	v_max_f32_e32 v0, v1, v1
	v_max_f32_e32 v0, v0, v3
	global_atomic_cmpswap v0, v2, v[0:1], s[0:1] glc
	s_waitcnt vmcnt(0)
	v_cmp_eq_u32_e32 vcc_lo, v0, v1
	v_mov_b32_e32 v1, v0
	s_or_b32 s6, vcc_lo, s6
	s_andn2_b32 exec_lo, exec_lo, s6
	s_cbranch_execnz .LBB13_77
.LBB13_78:
	s_endpgm
	.section	.rodata,"a",@progbits
	.p2align	6, 0x0
	.amdhsa_kernel _ZN9rocsparseL17kernel_correctionILi1024ELi64EfiiEEvT3_T2_PKS2_S4_PKS1_PKT1_21rocsparse_index_base_S4_S4_S6_PS7_SA_S4_S4_S6_SB_SA_SB_PNS_15floating_traitsIS7_E6data_tEPKSE_
		.amdhsa_group_segment_fixed_size 64
		.amdhsa_private_segment_fixed_size 0
		.amdhsa_kernarg_size 152
		.amdhsa_user_sgpr_count 6
		.amdhsa_user_sgpr_private_segment_buffer 1
		.amdhsa_user_sgpr_dispatch_ptr 0
		.amdhsa_user_sgpr_queue_ptr 0
		.amdhsa_user_sgpr_kernarg_segment_ptr 1
		.amdhsa_user_sgpr_dispatch_id 0
		.amdhsa_user_sgpr_flat_scratch_init 0
		.amdhsa_user_sgpr_private_segment_size 0
		.amdhsa_wavefront_size32 1
		.amdhsa_uses_dynamic_stack 0
		.amdhsa_system_sgpr_private_segment_wavefront_offset 0
		.amdhsa_system_sgpr_workgroup_id_x 1
		.amdhsa_system_sgpr_workgroup_id_y 0
		.amdhsa_system_sgpr_workgroup_id_z 0
		.amdhsa_system_sgpr_workgroup_info 0
		.amdhsa_system_vgpr_workitem_id 0
		.amdhsa_next_free_vgpr 38
		.amdhsa_next_free_sgpr 51
		.amdhsa_reserve_vcc 1
		.amdhsa_reserve_flat_scratch 0
		.amdhsa_float_round_mode_32 0
		.amdhsa_float_round_mode_16_64 0
		.amdhsa_float_denorm_mode_32 3
		.amdhsa_float_denorm_mode_16_64 3
		.amdhsa_dx10_clamp 1
		.amdhsa_ieee_mode 1
		.amdhsa_fp16_overflow 0
		.amdhsa_workgroup_processor_mode 1
		.amdhsa_memory_ordered 1
		.amdhsa_forward_progress 1
		.amdhsa_shared_vgpr_count 0
		.amdhsa_exception_fp_ieee_invalid_op 0
		.amdhsa_exception_fp_denorm_src 0
		.amdhsa_exception_fp_ieee_div_zero 0
		.amdhsa_exception_fp_ieee_overflow 0
		.amdhsa_exception_fp_ieee_underflow 0
		.amdhsa_exception_fp_ieee_inexact 0
		.amdhsa_exception_int_div_zero 0
	.end_amdhsa_kernel
	.section	.text._ZN9rocsparseL17kernel_correctionILi1024ELi64EfiiEEvT3_T2_PKS2_S4_PKS1_PKT1_21rocsparse_index_base_S4_S4_S6_PS7_SA_S4_S4_S6_SB_SA_SB_PNS_15floating_traitsIS7_E6data_tEPKSE_,"axG",@progbits,_ZN9rocsparseL17kernel_correctionILi1024ELi64EfiiEEvT3_T2_PKS2_S4_PKS1_PKT1_21rocsparse_index_base_S4_S4_S6_PS7_SA_S4_S4_S6_SB_SA_SB_PNS_15floating_traitsIS7_E6data_tEPKSE_,comdat
.Lfunc_end13:
	.size	_ZN9rocsparseL17kernel_correctionILi1024ELi64EfiiEEvT3_T2_PKS2_S4_PKS1_PKT1_21rocsparse_index_base_S4_S4_S6_PS7_SA_S4_S4_S6_SB_SA_SB_PNS_15floating_traitsIS7_E6data_tEPKSE_, .Lfunc_end13-_ZN9rocsparseL17kernel_correctionILi1024ELi64EfiiEEvT3_T2_PKS2_S4_PKS1_PKT1_21rocsparse_index_base_S4_S4_S6_PS7_SA_S4_S4_S6_SB_SA_SB_PNS_15floating_traitsIS7_E6data_tEPKSE_
                                        ; -- End function
	.set _ZN9rocsparseL17kernel_correctionILi1024ELi64EfiiEEvT3_T2_PKS2_S4_PKS1_PKT1_21rocsparse_index_base_S4_S4_S6_PS7_SA_S4_S4_S6_SB_SA_SB_PNS_15floating_traitsIS7_E6data_tEPKSE_.num_vgpr, 38
	.set _ZN9rocsparseL17kernel_correctionILi1024ELi64EfiiEEvT3_T2_PKS2_S4_PKS1_PKT1_21rocsparse_index_base_S4_S4_S6_PS7_SA_S4_S4_S6_SB_SA_SB_PNS_15floating_traitsIS7_E6data_tEPKSE_.num_agpr, 0
	.set _ZN9rocsparseL17kernel_correctionILi1024ELi64EfiiEEvT3_T2_PKS2_S4_PKS1_PKT1_21rocsparse_index_base_S4_S4_S6_PS7_SA_S4_S4_S6_SB_SA_SB_PNS_15floating_traitsIS7_E6data_tEPKSE_.numbered_sgpr, 51
	.set _ZN9rocsparseL17kernel_correctionILi1024ELi64EfiiEEvT3_T2_PKS2_S4_PKS1_PKT1_21rocsparse_index_base_S4_S4_S6_PS7_SA_S4_S4_S6_SB_SA_SB_PNS_15floating_traitsIS7_E6data_tEPKSE_.num_named_barrier, 0
	.set _ZN9rocsparseL17kernel_correctionILi1024ELi64EfiiEEvT3_T2_PKS2_S4_PKS1_PKT1_21rocsparse_index_base_S4_S4_S6_PS7_SA_S4_S4_S6_SB_SA_SB_PNS_15floating_traitsIS7_E6data_tEPKSE_.private_seg_size, 0
	.set _ZN9rocsparseL17kernel_correctionILi1024ELi64EfiiEEvT3_T2_PKS2_S4_PKS1_PKT1_21rocsparse_index_base_S4_S4_S6_PS7_SA_S4_S4_S6_SB_SA_SB_PNS_15floating_traitsIS7_E6data_tEPKSE_.uses_vcc, 1
	.set _ZN9rocsparseL17kernel_correctionILi1024ELi64EfiiEEvT3_T2_PKS2_S4_PKS1_PKT1_21rocsparse_index_base_S4_S4_S6_PS7_SA_S4_S4_S6_SB_SA_SB_PNS_15floating_traitsIS7_E6data_tEPKSE_.uses_flat_scratch, 0
	.set _ZN9rocsparseL17kernel_correctionILi1024ELi64EfiiEEvT3_T2_PKS2_S4_PKS1_PKT1_21rocsparse_index_base_S4_S4_S6_PS7_SA_S4_S4_S6_SB_SA_SB_PNS_15floating_traitsIS7_E6data_tEPKSE_.has_dyn_sized_stack, 0
	.set _ZN9rocsparseL17kernel_correctionILi1024ELi64EfiiEEvT3_T2_PKS2_S4_PKS1_PKT1_21rocsparse_index_base_S4_S4_S6_PS7_SA_S4_S4_S6_SB_SA_SB_PNS_15floating_traitsIS7_E6data_tEPKSE_.has_recursion, 0
	.set _ZN9rocsparseL17kernel_correctionILi1024ELi64EfiiEEvT3_T2_PKS2_S4_PKS1_PKT1_21rocsparse_index_base_S4_S4_S6_PS7_SA_S4_S4_S6_SB_SA_SB_PNS_15floating_traitsIS7_E6data_tEPKSE_.has_indirect_call, 0
	.section	.AMDGPU.csdata,"",@progbits
; Kernel info:
; codeLenInByte = 3032
; TotalNumSgprs: 53
; NumVgprs: 38
; ScratchSize: 0
; MemoryBound: 0
; FloatMode: 240
; IeeeMode: 1
; LDSByteSize: 64 bytes/workgroup (compile time only)
; SGPRBlocks: 0
; VGPRBlocks: 4
; NumSGPRsForWavesPerEU: 53
; NumVGPRsForWavesPerEU: 38
; Occupancy: 16
; WaveLimiterHint : 1
; COMPUTE_PGM_RSRC2:SCRATCH_EN: 0
; COMPUTE_PGM_RSRC2:USER_SGPR: 6
; COMPUTE_PGM_RSRC2:TRAP_HANDLER: 0
; COMPUTE_PGM_RSRC2:TGID_X_EN: 1
; COMPUTE_PGM_RSRC2:TGID_Y_EN: 0
; COMPUTE_PGM_RSRC2:TGID_Z_EN: 0
; COMPUTE_PGM_RSRC2:TIDIG_COMP_CNT: 0
	.section	.text._ZN9rocsparseL25kernel_correction_no_normILi1024ELi1EdiiEEvT3_T2_PKS2_S4_PKS1_PKT1_21rocsparse_index_base_S4_S4_S6_PS7_SA_S4_S4_S6_SB_SA_SB_,"axG",@progbits,_ZN9rocsparseL25kernel_correction_no_normILi1024ELi1EdiiEEvT3_T2_PKS2_S4_PKS1_PKT1_21rocsparse_index_base_S4_S4_S6_PS7_SA_S4_S4_S6_SB_SA_SB_,comdat
	.globl	_ZN9rocsparseL25kernel_correction_no_normILi1024ELi1EdiiEEvT3_T2_PKS2_S4_PKS1_PKT1_21rocsparse_index_base_S4_S4_S6_PS7_SA_S4_S4_S6_SB_SA_SB_ ; -- Begin function _ZN9rocsparseL25kernel_correction_no_normILi1024ELi1EdiiEEvT3_T2_PKS2_S4_PKS1_PKT1_21rocsparse_index_base_S4_S4_S6_PS7_SA_S4_S4_S6_SB_SA_SB_
	.p2align	8
	.type	_ZN9rocsparseL25kernel_correction_no_normILi1024ELi1EdiiEEvT3_T2_PKS2_S4_PKS1_PKT1_21rocsparse_index_base_S4_S4_S6_PS7_SA_S4_S4_S6_SB_SA_SB_,@function
_ZN9rocsparseL25kernel_correction_no_normILi1024ELi1EdiiEEvT3_T2_PKS2_S4_PKS1_PKT1_21rocsparse_index_base_S4_S4_S6_PS7_SA_S4_S4_S6_SB_SA_SB_: ; @_ZN9rocsparseL25kernel_correction_no_normILi1024ELi1EdiiEEvT3_T2_PKS2_S4_PKS1_PKT1_21rocsparse_index_base_S4_S4_S6_PS7_SA_S4_S4_S6_SB_SA_SB_
; %bb.0:
	s_load_dword s7, s[4:5], 0x0
	s_lshl_b32 s6, s6, 10
	s_mov_b32 s0, exec_lo
	v_or_b32_e32 v0, s6, v0
	s_waitcnt lgkmcnt(0)
	v_cmpx_gt_i32_e64 s7, v0
	s_cbranch_execz .LBB14_40
; %bb.1:
	s_addk_i32 s6, 0x400
	v_cmp_gt_u32_e32 vcc_lo, s6, v0
	s_and_b32 exec_lo, exec_lo, vcc_lo
	s_cbranch_execz .LBB14_40
; %bb.2:
	s_clause 0x6
	s_load_dwordx8 s[8:15], s[4:5], 0x58
	s_load_dwordx8 s[16:23], s[4:5], 0x30
	;; [unrolled: 1-line block ×3, first 2 shown]
	s_load_dword s33, s[4:5], 0x28
	s_load_dword s34, s[4:5], 0x50
	s_load_dwordx2 s[2:3], s[4:5], 0x80
	s_load_dword s4, s[4:5], 0x78
	v_mov_b32_e32 v2, 0
	s_mov_b32 s5, 0
	s_branch .LBB14_4
.LBB14_3:                               ;   in Loop: Header=BB14_4 Depth=1
	s_or_b32 exec_lo, exec_lo, s35
	v_add_nc_u32_e32 v0, 0x400, v0
	v_cmp_le_u32_e32 vcc_lo, s6, v0
	s_or_b32 s5, vcc_lo, s5
	s_andn2_b32 exec_lo, exec_lo, s5
	s_cbranch_execz .LBB14_40
.LBB14_4:                               ; =>This Loop Header: Depth=1
                                        ;     Child Loop BB14_8 Depth 2
                                        ;       Child Loop BB14_12 Depth 3
                                        ;       Child Loop BB14_26 Depth 3
	;; [unrolled: 1-line block ×3, first 2 shown]
	s_mov_b32 s35, exec_lo
	v_cmpx_gt_i32_e64 s7, v0
	s_cbranch_execz .LBB14_3
; %bb.5:                                ;   in Loop: Header=BB14_4 Depth=1
	v_ashrrev_i32_e32 v1, 31, v0
	v_lshlrev_b64 v[3:4], 2, v[0:1]
	s_waitcnt lgkmcnt(0)
	v_add_co_u32 v5, vcc_lo, s24, v3
	v_add_co_ci_u32_e64 v6, null, s25, v4, vcc_lo
	v_add_co_u32 v7, vcc_lo, s26, v3
	v_add_co_ci_u32_e64 v8, null, s27, v4, vcc_lo
	global_load_dword v1, v[5:6], off
	global_load_dword v5, v[7:8], off
	s_waitcnt vmcnt(0)
	v_cmp_lt_i32_e32 vcc_lo, v1, v5
	s_and_b32 exec_lo, exec_lo, vcc_lo
	s_cbranch_execz .LBB14_3
; %bb.6:                                ;   in Loop: Header=BB14_4 Depth=1
	v_add_co_u32 v6, vcc_lo, s16, v3
	v_add_co_ci_u32_e64 v7, null, s17, v4, vcc_lo
	v_add_co_u32 v3, vcc_lo, s18, v3
	v_add_co_ci_u32_e64 v4, null, s19, v4, vcc_lo
	global_load_dword v8, v[6:7], off
	v_subrev_nc_u32_e32 v14, s33, v5
	v_subrev_nc_u32_e32 v5, s33, v1
	global_load_dword v9, v[3:4], off
	s_mov_b32 s36, 0
	s_waitcnt vmcnt(1)
	v_subrev_nc_u32_e32 v3, s34, v8
	s_waitcnt vmcnt(0)
	v_sub_nc_u32_e32 v15, v9, v8
	v_ashrrev_i32_e32 v4, 31, v3
	v_cmp_lt_i32_e64 s0, 0, v15
	v_lshlrev_b64 v[6:7], 2, v[3:4]
	v_lshlrev_b64 v[8:9], 3, v[3:4]
	v_add_co_u32 v4, vcc_lo, s20, v6
	v_add_co_ci_u32_e64 v16, null, s21, v7, vcc_lo
	v_add_co_u32 v17, vcc_lo, s22, v8
	v_add_co_ci_u32_e64 v18, null, s23, v9, vcc_lo
	s_branch .LBB14_8
.LBB14_7:                               ;   in Loop: Header=BB14_8 Depth=2
	s_or_b32 exec_lo, exec_lo, s37
	v_add_nc_u32_e32 v5, 1, v5
	v_cmp_ge_i32_e32 vcc_lo, v5, v14
	s_or_b32 s36, vcc_lo, s36
	s_andn2_b32 exec_lo, exec_lo, s36
	s_cbranch_execz .LBB14_3
.LBB14_8:                               ;   Parent Loop BB14_4 Depth=1
                                        ; =>  This Loop Header: Depth=2
                                        ;       Child Loop BB14_12 Depth 3
                                        ;       Child Loop BB14_26 Depth 3
	;; [unrolled: 1-line block ×3, first 2 shown]
	v_ashrrev_i32_e32 v6, 31, v5
	v_lshlrev_b64 v[7:8], 2, v[5:6]
	v_add_co_u32 v7, vcc_lo, s28, v7
	v_add_co_ci_u32_e64 v8, null, s29, v8, vcc_lo
	global_load_dword v1, v[7:8], off
	s_waitcnt vmcnt(0)
	v_subrev_nc_u32_e32 v7, s33, v1
	v_ashrrev_i32_e32 v8, 31, v7
	v_lshlrev_b64 v[9:10], 2, v[7:8]
	v_add_co_u32 v11, vcc_lo, s8, v9
	v_add_co_ci_u32_e64 v12, null, s9, v10, vcc_lo
	v_add_co_u32 v9, vcc_lo, s10, v9
	v_add_co_ci_u32_e64 v10, null, s11, v10, vcc_lo
	global_load_dword v1, v[11:12], off
	global_load_dword v11, v[9:10], off
	v_mov_b32_e32 v10, 0
	v_mov_b32_e32 v12, 0
	;; [unrolled: 1-line block ×3, first 2 shown]
	s_waitcnt vmcnt(1)
	v_subrev_nc_u32_e32 v9, s4, v1
	s_waitcnt vmcnt(0)
	v_sub_nc_u32_e32 v19, v11, v1
	v_mov_b32_e32 v1, v10
	s_and_saveexec_b32 s37, s0
	s_cbranch_execz .LBB14_16
; %bb.9:                                ;   in Loop: Header=BB14_8 Depth=2
	v_ashrrev_i32_e32 v10, 31, v9
	v_mov_b32_e32 v12, 0
	v_mov_b32_e32 v13, 0
	;; [unrolled: 1-line block ×3, first 2 shown]
	s_mov_b32 s38, 0
	v_lshlrev_b64 v[20:21], 2, v[9:10]
	v_lshlrev_b64 v[10:11], 3, v[9:10]
                                        ; implicit-def: $sgpr39
	v_add_co_u32 v20, vcc_lo, s12, v20
	v_add_co_ci_u32_e64 v21, null, s13, v21, vcc_lo
	v_add_co_u32 v22, vcc_lo, s14, v10
	v_add_co_ci_u32_e64 v23, null, s15, v11, vcc_lo
	v_mov_b32_e32 v10, 0
	s_branch .LBB14_12
.LBB14_10:                              ;   in Loop: Header=BB14_12 Depth=3
	s_or_b32 exec_lo, exec_lo, s1
	v_cmp_le_i32_e32 vcc_lo, v24, v25
	v_cmp_ge_i32_e64 s1, v24, v25
	v_add_co_ci_u32_e64 v1, null, 0, v1, vcc_lo
	v_add_co_ci_u32_e64 v10, null, 0, v10, s1
	s_andn2_b32 s1, s39, exec_lo
	v_cmp_ge_i32_e32 vcc_lo, v1, v15
	s_and_b32 s39, vcc_lo, exec_lo
	s_or_b32 s39, s1, s39
.LBB14_11:                              ;   in Loop: Header=BB14_12 Depth=3
	s_or_b32 exec_lo, exec_lo, s40
	s_and_b32 s1, exec_lo, s39
	s_or_b32 s38, s1, s38
	s_andn2_b32 exec_lo, exec_lo, s38
	s_cbranch_execz .LBB14_15
.LBB14_12:                              ;   Parent Loop BB14_4 Depth=1
                                        ;     Parent Loop BB14_8 Depth=2
                                        ; =>    This Inner Loop Header: Depth=3
	s_or_b32 s39, s39, exec_lo
	s_mov_b32 s40, exec_lo
	v_cmpx_lt_i32_e64 v10, v19
	s_cbranch_execz .LBB14_11
; %bb.13:                               ;   in Loop: Header=BB14_12 Depth=3
	v_mov_b32_e32 v11, v2
	v_lshlrev_b64 v[24:25], 2, v[1:2]
	s_mov_b32 s1, exec_lo
	v_lshlrev_b64 v[26:27], 2, v[10:11]
	v_add_co_u32 v24, vcc_lo, v4, v24
	v_add_co_ci_u32_e64 v25, null, v16, v25, vcc_lo
	v_add_co_u32 v26, vcc_lo, v20, v26
	v_add_co_ci_u32_e64 v27, null, v21, v27, vcc_lo
	global_load_dword v24, v[24:25], off
	global_load_dword v25, v[26:27], off
	s_waitcnt vmcnt(1)
	v_subrev_nc_u32_e32 v24, s34, v24
	s_waitcnt vmcnt(0)
	v_subrev_nc_u32_e32 v25, s4, v25
	v_cmpx_eq_u32_e64 v24, v25
	s_cbranch_execz .LBB14_10
; %bb.14:                               ;   in Loop: Header=BB14_12 Depth=3
	v_lshlrev_b64 v[26:27], 3, v[1:2]
	v_lshlrev_b64 v[28:29], 3, v[10:11]
	v_add_co_u32 v26, vcc_lo, v17, v26
	v_add_co_ci_u32_e64 v27, null, v18, v27, vcc_lo
	v_add_co_u32 v28, vcc_lo, v22, v28
	v_add_co_ci_u32_e64 v29, null, v23, v29, vcc_lo
	global_load_dwordx2 v[26:27], v[26:27], off
	global_load_dwordx2 v[28:29], v[28:29], off
	s_waitcnt vmcnt(0)
	v_fma_f64 v[12:13], v[26:27], v[28:29], v[12:13]
	s_branch .LBB14_10
.LBB14_15:                              ;   in Loop: Header=BB14_8 Depth=2
	s_or_b32 exec_lo, exec_lo, s38
.LBB14_16:                              ;   in Loop: Header=BB14_8 Depth=2
	s_or_b32 exec_lo, exec_lo, s37
	v_lshlrev_b64 v[20:21], 3, v[5:6]
	v_cmp_le_i32_e64 s1, v0, v7
	s_mov_b32 s37, exec_lo
	v_add_co_u32 v20, vcc_lo, s30, v20
	v_add_co_ci_u32_e64 v21, null, s31, v21, vcc_lo
	global_load_dwordx2 v[20:21], v[20:21], off
	s_waitcnt vmcnt(0)
	v_add_f64 v[11:12], v[20:21], -v[12:13]
	v_cmpx_gt_i32_e64 v0, v7
	s_cbranch_execz .LBB14_18
; %bb.17:                               ;   in Loop: Header=BB14_8 Depth=2
	v_lshlrev_b64 v[20:21], 3, v[7:8]
	v_add_co_u32 v20, vcc_lo, s2, v20
	v_add_co_ci_u32_e64 v21, null, s3, v21, vcc_lo
	global_load_dwordx2 v[20:21], v[20:21], off
	s_waitcnt vmcnt(0)
	v_div_scale_f64 v[22:23], null, v[20:21], v[20:21], v[11:12]
	v_rcp_f64_e32 v[24:25], v[22:23]
	v_fma_f64 v[26:27], -v[22:23], v[24:25], 1.0
	v_fma_f64 v[24:25], v[24:25], v[26:27], v[24:25]
	v_fma_f64 v[26:27], -v[22:23], v[24:25], 1.0
	v_fma_f64 v[24:25], v[24:25], v[26:27], v[24:25]
	v_div_scale_f64 v[26:27], vcc_lo, v[11:12], v[20:21], v[11:12]
	v_mul_f64 v[28:29], v[26:27], v[24:25]
	v_fma_f64 v[22:23], -v[22:23], v[28:29], v[26:27]
	v_div_fmas_f64 v[22:23], v[22:23], v[24:25], v[28:29]
	v_div_fixup_f64 v[11:12], v[22:23], v[20:21], v[11:12]
.LBB14_18:                              ;   in Loop: Header=BB14_8 Depth=2
	s_or_b32 exec_lo, exec_lo, s37
	v_cmp_class_f64_e64 s38, v[11:12], 0x1f8
	s_and_saveexec_b32 s37, s38
	s_cbranch_execz .LBB14_7
; %bb.19:                               ;   in Loop: Header=BB14_8 Depth=2
	s_and_saveexec_b32 s38, s1
	s_xor_b32 s1, exec_lo, s38
	s_cbranch_execz .LBB14_32
; %bb.20:                               ;   in Loop: Header=BB14_8 Depth=2
	s_mov_b32 s38, exec_lo
	v_cmpx_ge_i32_e64 v0, v7
	s_xor_b32 s38, exec_lo, s38
	s_cbranch_execz .LBB14_22
; %bb.21:                               ;   in Loop: Header=BB14_8 Depth=2
	v_lshlrev_b64 v[6:7], 3, v[7:8]
                                        ; implicit-def: $vgpr10
                                        ; implicit-def: $vgpr19
                                        ; implicit-def: $vgpr9
	v_add_co_u32 v6, vcc_lo, s2, v6
	v_add_co_ci_u32_e64 v7, null, s3, v7, vcc_lo
	global_store_dwordx2 v[6:7], v[11:12], off
                                        ; implicit-def: $vgpr11_vgpr12
.LBB14_22:                              ;   in Loop: Header=BB14_8 Depth=2
	s_andn2_saveexec_b32 s38, s38
	s_cbranch_execz .LBB14_31
; %bb.23:                               ;   in Loop: Header=BB14_8 Depth=2
	s_mov_b32 s39, exec_lo
	v_cmpx_lt_i32_e64 v10, v19
	s_cbranch_execz .LBB14_30
; %bb.24:                               ;   in Loop: Header=BB14_8 Depth=2
	s_mov_b32 s40, 0
                                        ; implicit-def: $sgpr41
                                        ; implicit-def: $sgpr43
                                        ; implicit-def: $sgpr42
	s_inst_prefetch 0x1
	s_branch .LBB14_26
	.p2align	6
.LBB14_25:                              ;   in Loop: Header=BB14_26 Depth=3
	s_or_b32 exec_lo, exec_lo, s44
	s_and_b32 s44, exec_lo, s43
	s_or_b32 s40, s44, s40
	s_andn2_b32 s41, s41, exec_lo
	s_and_b32 s44, s42, exec_lo
	s_or_b32 s41, s41, s44
	s_andn2_b32 exec_lo, exec_lo, s40
	s_cbranch_execz .LBB14_28
.LBB14_26:                              ;   Parent Loop BB14_4 Depth=1
                                        ;     Parent Loop BB14_8 Depth=2
                                        ; =>    This Inner Loop Header: Depth=3
	v_add_nc_u32_e32 v6, v9, v10
	s_or_b32 s42, s42, exec_lo
	s_or_b32 s43, s43, exec_lo
	s_mov_b32 s44, exec_lo
	v_ashrrev_i32_e32 v7, 31, v6
	v_lshlrev_b64 v[20:21], 2, v[6:7]
	v_add_co_u32 v20, vcc_lo, s12, v20
	v_add_co_ci_u32_e64 v21, null, s13, v21, vcc_lo
	global_load_dword v1, v[20:21], off
	s_waitcnt vmcnt(0)
	v_subrev_nc_u32_e32 v1, s4, v1
	v_cmpx_ne_u32_e64 v1, v0
	s_cbranch_execz .LBB14_25
; %bb.27:                               ;   in Loop: Header=BB14_26 Depth=3
	v_add_nc_u32_e32 v10, 1, v10
	s_andn2_b32 s43, s43, exec_lo
	s_andn2_b32 s42, s42, exec_lo
	v_cmp_ge_i32_e32 vcc_lo, v10, v19
	s_and_b32 s45, vcc_lo, exec_lo
	s_or_b32 s43, s43, s45
	s_branch .LBB14_25
.LBB14_28:                              ;   in Loop: Header=BB14_8 Depth=2
	s_inst_prefetch 0x2
	s_or_b32 exec_lo, exec_lo, s40
	s_and_saveexec_b32 s40, s41
	s_xor_b32 s40, exec_lo, s40
	s_cbranch_execz .LBB14_30
; %bb.29:                               ;   in Loop: Header=BB14_8 Depth=2
	v_lshlrev_b64 v[6:7], 3, v[6:7]
	v_add_co_u32 v6, vcc_lo, s14, v6
	v_add_co_ci_u32_e64 v7, null, s15, v7, vcc_lo
	global_store_dwordx2 v[6:7], v[11:12], off
.LBB14_30:                              ;   in Loop: Header=BB14_8 Depth=2
	s_or_b32 exec_lo, exec_lo, s39
.LBB14_31:                              ;   in Loop: Header=BB14_8 Depth=2
	s_or_b32 exec_lo, exec_lo, s38
                                        ; implicit-def: $vgpr11_vgpr12
                                        ; implicit-def: $vgpr7_vgpr8
.LBB14_32:                              ;   in Loop: Header=BB14_8 Depth=2
	s_andn2_saveexec_b32 s1, s1
	s_cbranch_execz .LBB14_7
; %bb.33:                               ;   in Loop: Header=BB14_8 Depth=2
	v_cmp_lt_i32_e32 vcc_lo, v1, v15
	s_and_b32 exec_lo, exec_lo, vcc_lo
	s_cbranch_execz .LBB14_7
; %bb.34:                               ;   in Loop: Header=BB14_8 Depth=2
	s_mov_b32 s1, 0
                                        ; implicit-def: $sgpr38
                                        ; implicit-def: $sgpr40
                                        ; implicit-def: $sgpr39
	s_inst_prefetch 0x1
	s_branch .LBB14_36
	.p2align	6
.LBB14_35:                              ;   in Loop: Header=BB14_36 Depth=3
	s_or_b32 exec_lo, exec_lo, s41
	s_and_b32 s41, exec_lo, s40
	s_or_b32 s1, s41, s1
	s_andn2_b32 s38, s38, exec_lo
	s_and_b32 s41, s39, exec_lo
	s_or_b32 s38, s38, s41
	s_andn2_b32 exec_lo, exec_lo, s1
	s_cbranch_execz .LBB14_38
.LBB14_36:                              ;   Parent Loop BB14_4 Depth=1
                                        ;     Parent Loop BB14_8 Depth=2
                                        ; =>    This Inner Loop Header: Depth=3
	v_add_nc_u32_e32 v8, v3, v1
	s_or_b32 s39, s39, exec_lo
	s_or_b32 s40, s40, exec_lo
	s_mov_b32 s41, exec_lo
	v_ashrrev_i32_e32 v9, 31, v8
	v_lshlrev_b64 v[19:20], 2, v[8:9]
	v_add_co_u32 v19, vcc_lo, s20, v19
	v_add_co_ci_u32_e64 v20, null, s21, v20, vcc_lo
	global_load_dword v6, v[19:20], off
	s_waitcnt vmcnt(0)
	v_subrev_nc_u32_e32 v6, s34, v6
	v_cmpx_ne_u32_e64 v6, v7
	s_cbranch_execz .LBB14_35
; %bb.37:                               ;   in Loop: Header=BB14_36 Depth=3
	v_add_nc_u32_e32 v1, 1, v1
	s_andn2_b32 s40, s40, exec_lo
	s_andn2_b32 s39, s39, exec_lo
	v_cmp_ge_i32_e32 vcc_lo, v1, v15
	s_and_b32 s42, vcc_lo, exec_lo
	s_or_b32 s40, s40, s42
	s_branch .LBB14_35
.LBB14_38:                              ;   in Loop: Header=BB14_8 Depth=2
	s_inst_prefetch 0x2
	s_or_b32 exec_lo, exec_lo, s1
	s_and_saveexec_b32 s1, s38
	s_xor_b32 s1, exec_lo, s1
	s_cbranch_execz .LBB14_7
; %bb.39:                               ;   in Loop: Header=BB14_8 Depth=2
	v_lshlrev_b64 v[6:7], 3, v[8:9]
	v_add_co_u32 v6, vcc_lo, s22, v6
	v_add_co_ci_u32_e64 v7, null, s23, v7, vcc_lo
	global_store_dwordx2 v[6:7], v[11:12], off
	s_branch .LBB14_7
.LBB14_40:
	s_endpgm
	.section	.rodata,"a",@progbits
	.p2align	6, 0x0
	.amdhsa_kernel _ZN9rocsparseL25kernel_correction_no_normILi1024ELi1EdiiEEvT3_T2_PKS2_S4_PKS1_PKT1_21rocsparse_index_base_S4_S4_S6_PS7_SA_S4_S4_S6_SB_SA_SB_
		.amdhsa_group_segment_fixed_size 0
		.amdhsa_private_segment_fixed_size 0
		.amdhsa_kernarg_size 136
		.amdhsa_user_sgpr_count 6
		.amdhsa_user_sgpr_private_segment_buffer 1
		.amdhsa_user_sgpr_dispatch_ptr 0
		.amdhsa_user_sgpr_queue_ptr 0
		.amdhsa_user_sgpr_kernarg_segment_ptr 1
		.amdhsa_user_sgpr_dispatch_id 0
		.amdhsa_user_sgpr_flat_scratch_init 0
		.amdhsa_user_sgpr_private_segment_size 0
		.amdhsa_wavefront_size32 1
		.amdhsa_uses_dynamic_stack 0
		.amdhsa_system_sgpr_private_segment_wavefront_offset 0
		.amdhsa_system_sgpr_workgroup_id_x 1
		.amdhsa_system_sgpr_workgroup_id_y 0
		.amdhsa_system_sgpr_workgroup_id_z 0
		.amdhsa_system_sgpr_workgroup_info 0
		.amdhsa_system_vgpr_workitem_id 0
		.amdhsa_next_free_vgpr 30
		.amdhsa_next_free_sgpr 46
		.amdhsa_reserve_vcc 1
		.amdhsa_reserve_flat_scratch 0
		.amdhsa_float_round_mode_32 0
		.amdhsa_float_round_mode_16_64 0
		.amdhsa_float_denorm_mode_32 3
		.amdhsa_float_denorm_mode_16_64 3
		.amdhsa_dx10_clamp 1
		.amdhsa_ieee_mode 1
		.amdhsa_fp16_overflow 0
		.amdhsa_workgroup_processor_mode 1
		.amdhsa_memory_ordered 1
		.amdhsa_forward_progress 1
		.amdhsa_shared_vgpr_count 0
		.amdhsa_exception_fp_ieee_invalid_op 0
		.amdhsa_exception_fp_denorm_src 0
		.amdhsa_exception_fp_ieee_div_zero 0
		.amdhsa_exception_fp_ieee_overflow 0
		.amdhsa_exception_fp_ieee_underflow 0
		.amdhsa_exception_fp_ieee_inexact 0
		.amdhsa_exception_int_div_zero 0
	.end_amdhsa_kernel
	.section	.text._ZN9rocsparseL25kernel_correction_no_normILi1024ELi1EdiiEEvT3_T2_PKS2_S4_PKS1_PKT1_21rocsparse_index_base_S4_S4_S6_PS7_SA_S4_S4_S6_SB_SA_SB_,"axG",@progbits,_ZN9rocsparseL25kernel_correction_no_normILi1024ELi1EdiiEEvT3_T2_PKS2_S4_PKS1_PKT1_21rocsparse_index_base_S4_S4_S6_PS7_SA_S4_S4_S6_SB_SA_SB_,comdat
.Lfunc_end14:
	.size	_ZN9rocsparseL25kernel_correction_no_normILi1024ELi1EdiiEEvT3_T2_PKS2_S4_PKS1_PKT1_21rocsparse_index_base_S4_S4_S6_PS7_SA_S4_S4_S6_SB_SA_SB_, .Lfunc_end14-_ZN9rocsparseL25kernel_correction_no_normILi1024ELi1EdiiEEvT3_T2_PKS2_S4_PKS1_PKT1_21rocsparse_index_base_S4_S4_S6_PS7_SA_S4_S4_S6_SB_SA_SB_
                                        ; -- End function
	.set _ZN9rocsparseL25kernel_correction_no_normILi1024ELi1EdiiEEvT3_T2_PKS2_S4_PKS1_PKT1_21rocsparse_index_base_S4_S4_S6_PS7_SA_S4_S4_S6_SB_SA_SB_.num_vgpr, 30
	.set _ZN9rocsparseL25kernel_correction_no_normILi1024ELi1EdiiEEvT3_T2_PKS2_S4_PKS1_PKT1_21rocsparse_index_base_S4_S4_S6_PS7_SA_S4_S4_S6_SB_SA_SB_.num_agpr, 0
	.set _ZN9rocsparseL25kernel_correction_no_normILi1024ELi1EdiiEEvT3_T2_PKS2_S4_PKS1_PKT1_21rocsparse_index_base_S4_S4_S6_PS7_SA_S4_S4_S6_SB_SA_SB_.numbered_sgpr, 46
	.set _ZN9rocsparseL25kernel_correction_no_normILi1024ELi1EdiiEEvT3_T2_PKS2_S4_PKS1_PKT1_21rocsparse_index_base_S4_S4_S6_PS7_SA_S4_S4_S6_SB_SA_SB_.num_named_barrier, 0
	.set _ZN9rocsparseL25kernel_correction_no_normILi1024ELi1EdiiEEvT3_T2_PKS2_S4_PKS1_PKT1_21rocsparse_index_base_S4_S4_S6_PS7_SA_S4_S4_S6_SB_SA_SB_.private_seg_size, 0
	.set _ZN9rocsparseL25kernel_correction_no_normILi1024ELi1EdiiEEvT3_T2_PKS2_S4_PKS1_PKT1_21rocsparse_index_base_S4_S4_S6_PS7_SA_S4_S4_S6_SB_SA_SB_.uses_vcc, 1
	.set _ZN9rocsparseL25kernel_correction_no_normILi1024ELi1EdiiEEvT3_T2_PKS2_S4_PKS1_PKT1_21rocsparse_index_base_S4_S4_S6_PS7_SA_S4_S4_S6_SB_SA_SB_.uses_flat_scratch, 0
	.set _ZN9rocsparseL25kernel_correction_no_normILi1024ELi1EdiiEEvT3_T2_PKS2_S4_PKS1_PKT1_21rocsparse_index_base_S4_S4_S6_PS7_SA_S4_S4_S6_SB_SA_SB_.has_dyn_sized_stack, 0
	.set _ZN9rocsparseL25kernel_correction_no_normILi1024ELi1EdiiEEvT3_T2_PKS2_S4_PKS1_PKT1_21rocsparse_index_base_S4_S4_S6_PS7_SA_S4_S4_S6_SB_SA_SB_.has_recursion, 0
	.set _ZN9rocsparseL25kernel_correction_no_normILi1024ELi1EdiiEEvT3_T2_PKS2_S4_PKS1_PKT1_21rocsparse_index_base_S4_S4_S6_PS7_SA_S4_S4_S6_SB_SA_SB_.has_indirect_call, 0
	.section	.AMDGPU.csdata,"",@progbits
; Kernel info:
; codeLenInByte = 1728
; TotalNumSgprs: 48
; NumVgprs: 30
; ScratchSize: 0
; MemoryBound: 1
; FloatMode: 240
; IeeeMode: 1
; LDSByteSize: 0 bytes/workgroup (compile time only)
; SGPRBlocks: 0
; VGPRBlocks: 3
; NumSGPRsForWavesPerEU: 48
; NumVGPRsForWavesPerEU: 30
; Occupancy: 16
; WaveLimiterHint : 1
; COMPUTE_PGM_RSRC2:SCRATCH_EN: 0
; COMPUTE_PGM_RSRC2:USER_SGPR: 6
; COMPUTE_PGM_RSRC2:TRAP_HANDLER: 0
; COMPUTE_PGM_RSRC2:TGID_X_EN: 1
; COMPUTE_PGM_RSRC2:TGID_Y_EN: 0
; COMPUTE_PGM_RSRC2:TGID_Z_EN: 0
; COMPUTE_PGM_RSRC2:TIDIG_COMP_CNT: 0
	.section	.text._ZN9rocsparseL25kernel_correction_no_normILi1024ELi2EdiiEEvT3_T2_PKS2_S4_PKS1_PKT1_21rocsparse_index_base_S4_S4_S6_PS7_SA_S4_S4_S6_SB_SA_SB_,"axG",@progbits,_ZN9rocsparseL25kernel_correction_no_normILi1024ELi2EdiiEEvT3_T2_PKS2_S4_PKS1_PKT1_21rocsparse_index_base_S4_S4_S6_PS7_SA_S4_S4_S6_SB_SA_SB_,comdat
	.globl	_ZN9rocsparseL25kernel_correction_no_normILi1024ELi2EdiiEEvT3_T2_PKS2_S4_PKS1_PKT1_21rocsparse_index_base_S4_S4_S6_PS7_SA_S4_S4_S6_SB_SA_SB_ ; -- Begin function _ZN9rocsparseL25kernel_correction_no_normILi1024ELi2EdiiEEvT3_T2_PKS2_S4_PKS1_PKT1_21rocsparse_index_base_S4_S4_S6_PS7_SA_S4_S4_S6_SB_SA_SB_
	.p2align	8
	.type	_ZN9rocsparseL25kernel_correction_no_normILi1024ELi2EdiiEEvT3_T2_PKS2_S4_PKS1_PKT1_21rocsparse_index_base_S4_S4_S6_PS7_SA_S4_S4_S6_SB_SA_SB_,@function
_ZN9rocsparseL25kernel_correction_no_normILi1024ELi2EdiiEEvT3_T2_PKS2_S4_PKS1_PKT1_21rocsparse_index_base_S4_S4_S6_PS7_SA_S4_S4_S6_SB_SA_SB_: ; @_ZN9rocsparseL25kernel_correction_no_normILi1024ELi2EdiiEEvT3_T2_PKS2_S4_PKS1_PKT1_21rocsparse_index_base_S4_S4_S6_PS7_SA_S4_S4_S6_SB_SA_SB_
; %bb.0:
	s_load_dword s7, s[4:5], 0x0
	v_lshrrev_b32_e32 v1, 1, v0
	s_lshl_b32 s6, s6, 10
	s_mov_b32 s0, exec_lo
	v_or_b32_e32 v1, s6, v1
	s_waitcnt lgkmcnt(0)
	v_cmpx_gt_i32_e64 s7, v1
	s_cbranch_execz .LBB15_40
; %bb.1:
	s_addk_i32 s6, 0x400
	v_cmp_gt_u32_e32 vcc_lo, s6, v1
	s_and_b32 exec_lo, exec_lo, vcc_lo
	s_cbranch_execz .LBB15_40
; %bb.2:
	s_clause 0x6
	s_load_dword s33, s[4:5], 0x28
	s_load_dwordx8 s[8:15], s[4:5], 0x58
	s_load_dwordx8 s[16:23], s[4:5], 0x30
	;; [unrolled: 1-line block ×3, first 2 shown]
	s_load_dword s34, s[4:5], 0x50
	s_load_dwordx2 s[2:3], s[4:5], 0x80
	s_load_dword s4, s[4:5], 0x78
	v_and_b32_e32 v0, 1, v0
	v_mov_b32_e32 v3, 0
	s_mov_b32 s5, 0
	s_waitcnt lgkmcnt(0)
	v_subrev_nc_u32_e32 v0, s33, v0
	s_branch .LBB15_4
.LBB15_3:                               ;   in Loop: Header=BB15_4 Depth=1
	s_or_b32 exec_lo, exec_lo, s35
	v_add_nc_u32_e32 v1, 0x200, v1
	v_cmp_le_u32_e32 vcc_lo, s6, v1
	s_or_b32 s5, vcc_lo, s5
	s_andn2_b32 exec_lo, exec_lo, s5
	s_cbranch_execz .LBB15_40
.LBB15_4:                               ; =>This Loop Header: Depth=1
                                        ;     Child Loop BB15_8 Depth 2
                                        ;       Child Loop BB15_12 Depth 3
                                        ;       Child Loop BB15_26 Depth 3
	;; [unrolled: 1-line block ×3, first 2 shown]
	s_mov_b32 s35, exec_lo
	v_cmpx_gt_i32_e64 s7, v1
	s_cbranch_execz .LBB15_3
; %bb.5:                                ;   in Loop: Header=BB15_4 Depth=1
	v_ashrrev_i32_e32 v2, 31, v1
	v_lshlrev_b64 v[5:6], 2, v[1:2]
	v_add_co_u32 v7, vcc_lo, s24, v5
	v_add_co_ci_u32_e64 v8, null, s25, v6, vcc_lo
	v_add_co_u32 v9, vcc_lo, s26, v5
	v_add_co_ci_u32_e64 v10, null, s27, v6, vcc_lo
	global_load_dword v2, v[7:8], off
	global_load_dword v7, v[9:10], off
	s_waitcnt vmcnt(1)
	v_add_nc_u32_e32 v4, v0, v2
	s_waitcnt vmcnt(0)
	v_subrev_nc_u32_e32 v14, s33, v7
	v_cmp_lt_i32_e32 vcc_lo, v4, v14
	s_and_b32 exec_lo, exec_lo, vcc_lo
	s_cbranch_execz .LBB15_3
; %bb.6:                                ;   in Loop: Header=BB15_4 Depth=1
	v_add_co_u32 v7, vcc_lo, s16, v5
	v_add_co_ci_u32_e64 v8, null, s17, v6, vcc_lo
	v_add_co_u32 v5, vcc_lo, s18, v5
	v_add_co_ci_u32_e64 v6, null, s19, v6, vcc_lo
	global_load_dword v2, v[7:8], off
	s_mov_b32 s36, 0
	global_load_dword v5, v[5:6], off
	s_waitcnt vmcnt(1)
	v_subrev_nc_u32_e32 v6, s34, v2
	s_waitcnt vmcnt(0)
	v_sub_nc_u32_e32 v15, v5, v2
	v_ashrrev_i32_e32 v7, 31, v6
	v_cmp_lt_i32_e64 s0, 0, v15
	v_lshlrev_b64 v[8:9], 2, v[6:7]
	v_lshlrev_b64 v[10:11], 3, v[6:7]
	v_add_co_u32 v16, vcc_lo, s20, v8
	v_add_co_ci_u32_e64 v17, null, s21, v9, vcc_lo
	v_add_co_u32 v18, vcc_lo, s22, v10
	v_add_co_ci_u32_e64 v19, null, s23, v11, vcc_lo
	s_branch .LBB15_8
.LBB15_7:                               ;   in Loop: Header=BB15_8 Depth=2
	s_or_b32 exec_lo, exec_lo, s37
	v_add_nc_u32_e32 v4, 2, v4
	v_cmp_ge_i32_e32 vcc_lo, v4, v14
	s_or_b32 s36, vcc_lo, s36
	s_andn2_b32 exec_lo, exec_lo, s36
	s_cbranch_execz .LBB15_3
.LBB15_8:                               ;   Parent Loop BB15_4 Depth=1
                                        ; =>  This Loop Header: Depth=2
                                        ;       Child Loop BB15_12 Depth 3
                                        ;       Child Loop BB15_26 Depth 3
	;; [unrolled: 1-line block ×3, first 2 shown]
	v_ashrrev_i32_e32 v5, 31, v4
	v_lshlrev_b64 v[7:8], 2, v[4:5]
	v_add_co_u32 v7, vcc_lo, s28, v7
	v_add_co_ci_u32_e64 v8, null, s29, v8, vcc_lo
	global_load_dword v2, v[7:8], off
	s_waitcnt vmcnt(0)
	v_subrev_nc_u32_e32 v7, s33, v2
	v_ashrrev_i32_e32 v8, 31, v7
	v_lshlrev_b64 v[9:10], 2, v[7:8]
	v_add_co_u32 v11, vcc_lo, s8, v9
	v_add_co_ci_u32_e64 v12, null, s9, v10, vcc_lo
	v_add_co_u32 v9, vcc_lo, s10, v9
	v_add_co_ci_u32_e64 v10, null, s11, v10, vcc_lo
	global_load_dword v2, v[11:12], off
	global_load_dword v11, v[9:10], off
	v_mov_b32_e32 v10, 0
	v_mov_b32_e32 v12, 0
	;; [unrolled: 1-line block ×3, first 2 shown]
	s_waitcnt vmcnt(1)
	v_subrev_nc_u32_e32 v9, s4, v2
	s_waitcnt vmcnt(0)
	v_sub_nc_u32_e32 v20, v11, v2
	v_mov_b32_e32 v2, v10
	s_and_saveexec_b32 s37, s0
	s_cbranch_execz .LBB15_16
; %bb.9:                                ;   in Loop: Header=BB15_8 Depth=2
	v_ashrrev_i32_e32 v10, 31, v9
	v_mov_b32_e32 v12, 0
	v_mov_b32_e32 v13, 0
	;; [unrolled: 1-line block ×3, first 2 shown]
	s_mov_b32 s38, 0
	v_lshlrev_b64 v[21:22], 2, v[9:10]
	v_lshlrev_b64 v[10:11], 3, v[9:10]
                                        ; implicit-def: $sgpr39
	v_add_co_u32 v21, vcc_lo, s12, v21
	v_add_co_ci_u32_e64 v22, null, s13, v22, vcc_lo
	v_add_co_u32 v23, vcc_lo, s14, v10
	v_add_co_ci_u32_e64 v24, null, s15, v11, vcc_lo
	v_mov_b32_e32 v10, 0
	s_branch .LBB15_12
.LBB15_10:                              ;   in Loop: Header=BB15_12 Depth=3
	s_or_b32 exec_lo, exec_lo, s1
	v_cmp_le_i32_e32 vcc_lo, v25, v26
	v_cmp_ge_i32_e64 s1, v25, v26
	v_add_co_ci_u32_e64 v2, null, 0, v2, vcc_lo
	v_add_co_ci_u32_e64 v10, null, 0, v10, s1
	s_andn2_b32 s1, s39, exec_lo
	v_cmp_ge_i32_e32 vcc_lo, v2, v15
	s_and_b32 s39, vcc_lo, exec_lo
	s_or_b32 s39, s1, s39
.LBB15_11:                              ;   in Loop: Header=BB15_12 Depth=3
	s_or_b32 exec_lo, exec_lo, s40
	s_and_b32 s1, exec_lo, s39
	s_or_b32 s38, s1, s38
	s_andn2_b32 exec_lo, exec_lo, s38
	s_cbranch_execz .LBB15_15
.LBB15_12:                              ;   Parent Loop BB15_4 Depth=1
                                        ;     Parent Loop BB15_8 Depth=2
                                        ; =>    This Inner Loop Header: Depth=3
	s_or_b32 s39, s39, exec_lo
	s_mov_b32 s40, exec_lo
	v_cmpx_lt_i32_e64 v10, v20
	s_cbranch_execz .LBB15_11
; %bb.13:                               ;   in Loop: Header=BB15_12 Depth=3
	v_mov_b32_e32 v11, v3
	v_lshlrev_b64 v[25:26], 2, v[2:3]
	s_mov_b32 s1, exec_lo
	v_lshlrev_b64 v[27:28], 2, v[10:11]
	v_add_co_u32 v25, vcc_lo, v16, v25
	v_add_co_ci_u32_e64 v26, null, v17, v26, vcc_lo
	v_add_co_u32 v27, vcc_lo, v21, v27
	v_add_co_ci_u32_e64 v28, null, v22, v28, vcc_lo
	global_load_dword v25, v[25:26], off
	global_load_dword v26, v[27:28], off
	s_waitcnt vmcnt(1)
	v_subrev_nc_u32_e32 v25, s34, v25
	s_waitcnt vmcnt(0)
	v_subrev_nc_u32_e32 v26, s4, v26
	v_cmpx_eq_u32_e64 v25, v26
	s_cbranch_execz .LBB15_10
; %bb.14:                               ;   in Loop: Header=BB15_12 Depth=3
	v_lshlrev_b64 v[27:28], 3, v[2:3]
	v_lshlrev_b64 v[29:30], 3, v[10:11]
	v_add_co_u32 v27, vcc_lo, v18, v27
	v_add_co_ci_u32_e64 v28, null, v19, v28, vcc_lo
	v_add_co_u32 v29, vcc_lo, v23, v29
	v_add_co_ci_u32_e64 v30, null, v24, v30, vcc_lo
	global_load_dwordx2 v[27:28], v[27:28], off
	global_load_dwordx2 v[29:30], v[29:30], off
	s_waitcnt vmcnt(0)
	v_fma_f64 v[12:13], v[27:28], v[29:30], v[12:13]
	s_branch .LBB15_10
.LBB15_15:                              ;   in Loop: Header=BB15_8 Depth=2
	s_or_b32 exec_lo, exec_lo, s38
.LBB15_16:                              ;   in Loop: Header=BB15_8 Depth=2
	s_or_b32 exec_lo, exec_lo, s37
	v_lshlrev_b64 v[21:22], 3, v[4:5]
	v_cmp_le_i32_e64 s1, v1, v7
	s_mov_b32 s37, exec_lo
	v_add_co_u32 v21, vcc_lo, s30, v21
	v_add_co_ci_u32_e64 v22, null, s31, v22, vcc_lo
	global_load_dwordx2 v[21:22], v[21:22], off
	s_waitcnt vmcnt(0)
	v_add_f64 v[11:12], v[21:22], -v[12:13]
	v_cmpx_gt_i32_e64 v1, v7
	s_cbranch_execz .LBB15_18
; %bb.17:                               ;   in Loop: Header=BB15_8 Depth=2
	v_lshlrev_b64 v[21:22], 3, v[7:8]
	v_add_co_u32 v21, vcc_lo, s2, v21
	v_add_co_ci_u32_e64 v22, null, s3, v22, vcc_lo
	global_load_dwordx2 v[21:22], v[21:22], off
	s_waitcnt vmcnt(0)
	v_div_scale_f64 v[23:24], null, v[21:22], v[21:22], v[11:12]
	v_rcp_f64_e32 v[25:26], v[23:24]
	v_fma_f64 v[27:28], -v[23:24], v[25:26], 1.0
	v_fma_f64 v[25:26], v[25:26], v[27:28], v[25:26]
	v_fma_f64 v[27:28], -v[23:24], v[25:26], 1.0
	v_fma_f64 v[25:26], v[25:26], v[27:28], v[25:26]
	v_div_scale_f64 v[27:28], vcc_lo, v[11:12], v[21:22], v[11:12]
	v_mul_f64 v[29:30], v[27:28], v[25:26]
	v_fma_f64 v[23:24], -v[23:24], v[29:30], v[27:28]
	v_div_fmas_f64 v[23:24], v[23:24], v[25:26], v[29:30]
	v_div_fixup_f64 v[11:12], v[23:24], v[21:22], v[11:12]
.LBB15_18:                              ;   in Loop: Header=BB15_8 Depth=2
	s_or_b32 exec_lo, exec_lo, s37
	v_cmp_class_f64_e64 s38, v[11:12], 0x1f8
	s_and_saveexec_b32 s37, s38
	s_cbranch_execz .LBB15_7
; %bb.19:                               ;   in Loop: Header=BB15_8 Depth=2
	s_and_saveexec_b32 s38, s1
	s_xor_b32 s1, exec_lo, s38
	s_cbranch_execz .LBB15_32
; %bb.20:                               ;   in Loop: Header=BB15_8 Depth=2
	s_mov_b32 s38, exec_lo
	v_cmpx_ge_i32_e64 v1, v7
	s_xor_b32 s38, exec_lo, s38
	s_cbranch_execz .LBB15_22
; %bb.21:                               ;   in Loop: Header=BB15_8 Depth=2
	v_lshlrev_b64 v[7:8], 3, v[7:8]
                                        ; implicit-def: $vgpr10
                                        ; implicit-def: $vgpr20
                                        ; implicit-def: $vgpr9
	v_add_co_u32 v7, vcc_lo, s2, v7
	v_add_co_ci_u32_e64 v8, null, s3, v8, vcc_lo
	global_store_dwordx2 v[7:8], v[11:12], off
                                        ; implicit-def: $vgpr11_vgpr12
.LBB15_22:                              ;   in Loop: Header=BB15_8 Depth=2
	s_andn2_saveexec_b32 s38, s38
	s_cbranch_execz .LBB15_31
; %bb.23:                               ;   in Loop: Header=BB15_8 Depth=2
	s_mov_b32 s39, exec_lo
	v_cmpx_lt_i32_e64 v10, v20
	s_cbranch_execz .LBB15_30
; %bb.24:                               ;   in Loop: Header=BB15_8 Depth=2
	s_mov_b32 s40, 0
                                        ; implicit-def: $sgpr41
                                        ; implicit-def: $sgpr43
                                        ; implicit-def: $sgpr42
	s_inst_prefetch 0x1
	s_branch .LBB15_26
	.p2align	6
.LBB15_25:                              ;   in Loop: Header=BB15_26 Depth=3
	s_or_b32 exec_lo, exec_lo, s44
	s_and_b32 s44, exec_lo, s43
	s_or_b32 s40, s44, s40
	s_andn2_b32 s41, s41, exec_lo
	s_and_b32 s44, s42, exec_lo
	s_or_b32 s41, s41, s44
	s_andn2_b32 exec_lo, exec_lo, s40
	s_cbranch_execz .LBB15_28
.LBB15_26:                              ;   Parent Loop BB15_4 Depth=1
                                        ;     Parent Loop BB15_8 Depth=2
                                        ; =>    This Inner Loop Header: Depth=3
	v_add_nc_u32_e32 v7, v9, v10
	s_or_b32 s42, s42, exec_lo
	s_or_b32 s43, s43, exec_lo
	s_mov_b32 s44, exec_lo
	v_ashrrev_i32_e32 v8, 31, v7
	v_lshlrev_b64 v[21:22], 2, v[7:8]
	v_add_co_u32 v21, vcc_lo, s12, v21
	v_add_co_ci_u32_e64 v22, null, s13, v22, vcc_lo
	global_load_dword v2, v[21:22], off
	s_waitcnt vmcnt(0)
	v_subrev_nc_u32_e32 v2, s4, v2
	v_cmpx_ne_u32_e64 v2, v1
	s_cbranch_execz .LBB15_25
; %bb.27:                               ;   in Loop: Header=BB15_26 Depth=3
	v_add_nc_u32_e32 v10, 1, v10
	s_andn2_b32 s43, s43, exec_lo
	s_andn2_b32 s42, s42, exec_lo
	v_cmp_ge_i32_e32 vcc_lo, v10, v20
	s_and_b32 s45, vcc_lo, exec_lo
	s_or_b32 s43, s43, s45
	s_branch .LBB15_25
.LBB15_28:                              ;   in Loop: Header=BB15_8 Depth=2
	s_inst_prefetch 0x2
	s_or_b32 exec_lo, exec_lo, s40
	s_and_saveexec_b32 s40, s41
	s_xor_b32 s40, exec_lo, s40
	s_cbranch_execz .LBB15_30
; %bb.29:                               ;   in Loop: Header=BB15_8 Depth=2
	v_lshlrev_b64 v[7:8], 3, v[7:8]
	v_add_co_u32 v7, vcc_lo, s14, v7
	v_add_co_ci_u32_e64 v8, null, s15, v8, vcc_lo
	global_store_dwordx2 v[7:8], v[11:12], off
.LBB15_30:                              ;   in Loop: Header=BB15_8 Depth=2
	s_or_b32 exec_lo, exec_lo, s39
.LBB15_31:                              ;   in Loop: Header=BB15_8 Depth=2
	s_or_b32 exec_lo, exec_lo, s38
                                        ; implicit-def: $vgpr11_vgpr12
                                        ; implicit-def: $vgpr7_vgpr8
.LBB15_32:                              ;   in Loop: Header=BB15_8 Depth=2
	s_andn2_saveexec_b32 s1, s1
	s_cbranch_execz .LBB15_7
; %bb.33:                               ;   in Loop: Header=BB15_8 Depth=2
	v_cmp_lt_i32_e32 vcc_lo, v2, v15
	s_and_b32 exec_lo, exec_lo, vcc_lo
	s_cbranch_execz .LBB15_7
; %bb.34:                               ;   in Loop: Header=BB15_8 Depth=2
	s_mov_b32 s1, 0
                                        ; implicit-def: $sgpr38
                                        ; implicit-def: $sgpr40
                                        ; implicit-def: $sgpr39
	s_inst_prefetch 0x1
	s_branch .LBB15_36
	.p2align	6
.LBB15_35:                              ;   in Loop: Header=BB15_36 Depth=3
	s_or_b32 exec_lo, exec_lo, s41
	s_and_b32 s41, exec_lo, s40
	s_or_b32 s1, s41, s1
	s_andn2_b32 s38, s38, exec_lo
	s_and_b32 s41, s39, exec_lo
	s_or_b32 s38, s38, s41
	s_andn2_b32 exec_lo, exec_lo, s1
	s_cbranch_execz .LBB15_38
.LBB15_36:                              ;   Parent Loop BB15_4 Depth=1
                                        ;     Parent Loop BB15_8 Depth=2
                                        ; =>    This Inner Loop Header: Depth=3
	v_add_nc_u32_e32 v8, v6, v2
	s_or_b32 s39, s39, exec_lo
	s_or_b32 s40, s40, exec_lo
	s_mov_b32 s41, exec_lo
	v_ashrrev_i32_e32 v9, 31, v8
	v_lshlrev_b64 v[20:21], 2, v[8:9]
	v_add_co_u32 v20, vcc_lo, s20, v20
	v_add_co_ci_u32_e64 v21, null, s21, v21, vcc_lo
	global_load_dword v5, v[20:21], off
	s_waitcnt vmcnt(0)
	v_subrev_nc_u32_e32 v5, s34, v5
	v_cmpx_ne_u32_e64 v5, v7
	s_cbranch_execz .LBB15_35
; %bb.37:                               ;   in Loop: Header=BB15_36 Depth=3
	v_add_nc_u32_e32 v2, 1, v2
	s_andn2_b32 s40, s40, exec_lo
	s_andn2_b32 s39, s39, exec_lo
	v_cmp_ge_i32_e32 vcc_lo, v2, v15
	s_and_b32 s42, vcc_lo, exec_lo
	s_or_b32 s40, s40, s42
	s_branch .LBB15_35
.LBB15_38:                              ;   in Loop: Header=BB15_8 Depth=2
	s_inst_prefetch 0x2
	s_or_b32 exec_lo, exec_lo, s1
	s_and_saveexec_b32 s1, s38
	s_xor_b32 s1, exec_lo, s1
	s_cbranch_execz .LBB15_7
; %bb.39:                               ;   in Loop: Header=BB15_8 Depth=2
	v_lshlrev_b64 v[7:8], 3, v[8:9]
	v_add_co_u32 v7, vcc_lo, s22, v7
	v_add_co_ci_u32_e64 v8, null, s23, v8, vcc_lo
	global_store_dwordx2 v[7:8], v[11:12], off
	s_branch .LBB15_7
.LBB15_40:
	s_endpgm
	.section	.rodata,"a",@progbits
	.p2align	6, 0x0
	.amdhsa_kernel _ZN9rocsparseL25kernel_correction_no_normILi1024ELi2EdiiEEvT3_T2_PKS2_S4_PKS1_PKT1_21rocsparse_index_base_S4_S4_S6_PS7_SA_S4_S4_S6_SB_SA_SB_
		.amdhsa_group_segment_fixed_size 0
		.amdhsa_private_segment_fixed_size 0
		.amdhsa_kernarg_size 136
		.amdhsa_user_sgpr_count 6
		.amdhsa_user_sgpr_private_segment_buffer 1
		.amdhsa_user_sgpr_dispatch_ptr 0
		.amdhsa_user_sgpr_queue_ptr 0
		.amdhsa_user_sgpr_kernarg_segment_ptr 1
		.amdhsa_user_sgpr_dispatch_id 0
		.amdhsa_user_sgpr_flat_scratch_init 0
		.amdhsa_user_sgpr_private_segment_size 0
		.amdhsa_wavefront_size32 1
		.amdhsa_uses_dynamic_stack 0
		.amdhsa_system_sgpr_private_segment_wavefront_offset 0
		.amdhsa_system_sgpr_workgroup_id_x 1
		.amdhsa_system_sgpr_workgroup_id_y 0
		.amdhsa_system_sgpr_workgroup_id_z 0
		.amdhsa_system_sgpr_workgroup_info 0
		.amdhsa_system_vgpr_workitem_id 0
		.amdhsa_next_free_vgpr 31
		.amdhsa_next_free_sgpr 46
		.amdhsa_reserve_vcc 1
		.amdhsa_reserve_flat_scratch 0
		.amdhsa_float_round_mode_32 0
		.amdhsa_float_round_mode_16_64 0
		.amdhsa_float_denorm_mode_32 3
		.amdhsa_float_denorm_mode_16_64 3
		.amdhsa_dx10_clamp 1
		.amdhsa_ieee_mode 1
		.amdhsa_fp16_overflow 0
		.amdhsa_workgroup_processor_mode 1
		.amdhsa_memory_ordered 1
		.amdhsa_forward_progress 1
		.amdhsa_shared_vgpr_count 0
		.amdhsa_exception_fp_ieee_invalid_op 0
		.amdhsa_exception_fp_denorm_src 0
		.amdhsa_exception_fp_ieee_div_zero 0
		.amdhsa_exception_fp_ieee_overflow 0
		.amdhsa_exception_fp_ieee_underflow 0
		.amdhsa_exception_fp_ieee_inexact 0
		.amdhsa_exception_int_div_zero 0
	.end_amdhsa_kernel
	.section	.text._ZN9rocsparseL25kernel_correction_no_normILi1024ELi2EdiiEEvT3_T2_PKS2_S4_PKS1_PKT1_21rocsparse_index_base_S4_S4_S6_PS7_SA_S4_S4_S6_SB_SA_SB_,"axG",@progbits,_ZN9rocsparseL25kernel_correction_no_normILi1024ELi2EdiiEEvT3_T2_PKS2_S4_PKS1_PKT1_21rocsparse_index_base_S4_S4_S6_PS7_SA_S4_S4_S6_SB_SA_SB_,comdat
.Lfunc_end15:
	.size	_ZN9rocsparseL25kernel_correction_no_normILi1024ELi2EdiiEEvT3_T2_PKS2_S4_PKS1_PKT1_21rocsparse_index_base_S4_S4_S6_PS7_SA_S4_S4_S6_SB_SA_SB_, .Lfunc_end15-_ZN9rocsparseL25kernel_correction_no_normILi1024ELi2EdiiEEvT3_T2_PKS2_S4_PKS1_PKT1_21rocsparse_index_base_S4_S4_S6_PS7_SA_S4_S4_S6_SB_SA_SB_
                                        ; -- End function
	.set _ZN9rocsparseL25kernel_correction_no_normILi1024ELi2EdiiEEvT3_T2_PKS2_S4_PKS1_PKT1_21rocsparse_index_base_S4_S4_S6_PS7_SA_S4_S4_S6_SB_SA_SB_.num_vgpr, 31
	.set _ZN9rocsparseL25kernel_correction_no_normILi1024ELi2EdiiEEvT3_T2_PKS2_S4_PKS1_PKT1_21rocsparse_index_base_S4_S4_S6_PS7_SA_S4_S4_S6_SB_SA_SB_.num_agpr, 0
	.set _ZN9rocsparseL25kernel_correction_no_normILi1024ELi2EdiiEEvT3_T2_PKS2_S4_PKS1_PKT1_21rocsparse_index_base_S4_S4_S6_PS7_SA_S4_S4_S6_SB_SA_SB_.numbered_sgpr, 46
	.set _ZN9rocsparseL25kernel_correction_no_normILi1024ELi2EdiiEEvT3_T2_PKS2_S4_PKS1_PKT1_21rocsparse_index_base_S4_S4_S6_PS7_SA_S4_S4_S6_SB_SA_SB_.num_named_barrier, 0
	.set _ZN9rocsparseL25kernel_correction_no_normILi1024ELi2EdiiEEvT3_T2_PKS2_S4_PKS1_PKT1_21rocsparse_index_base_S4_S4_S6_PS7_SA_S4_S4_S6_SB_SA_SB_.private_seg_size, 0
	.set _ZN9rocsparseL25kernel_correction_no_normILi1024ELi2EdiiEEvT3_T2_PKS2_S4_PKS1_PKT1_21rocsparse_index_base_S4_S4_S6_PS7_SA_S4_S4_S6_SB_SA_SB_.uses_vcc, 1
	.set _ZN9rocsparseL25kernel_correction_no_normILi1024ELi2EdiiEEvT3_T2_PKS2_S4_PKS1_PKT1_21rocsparse_index_base_S4_S4_S6_PS7_SA_S4_S4_S6_SB_SA_SB_.uses_flat_scratch, 0
	.set _ZN9rocsparseL25kernel_correction_no_normILi1024ELi2EdiiEEvT3_T2_PKS2_S4_PKS1_PKT1_21rocsparse_index_base_S4_S4_S6_PS7_SA_S4_S4_S6_SB_SA_SB_.has_dyn_sized_stack, 0
	.set _ZN9rocsparseL25kernel_correction_no_normILi1024ELi2EdiiEEvT3_T2_PKS2_S4_PKS1_PKT1_21rocsparse_index_base_S4_S4_S6_PS7_SA_S4_S4_S6_SB_SA_SB_.has_recursion, 0
	.set _ZN9rocsparseL25kernel_correction_no_normILi1024ELi2EdiiEEvT3_T2_PKS2_S4_PKS1_PKT1_21rocsparse_index_base_S4_S4_S6_PS7_SA_S4_S4_S6_SB_SA_SB_.has_indirect_call, 0
	.section	.AMDGPU.csdata,"",@progbits
; Kernel info:
; codeLenInByte = 1728
; TotalNumSgprs: 48
; NumVgprs: 31
; ScratchSize: 0
; MemoryBound: 1
; FloatMode: 240
; IeeeMode: 1
; LDSByteSize: 0 bytes/workgroup (compile time only)
; SGPRBlocks: 0
; VGPRBlocks: 3
; NumSGPRsForWavesPerEU: 48
; NumVGPRsForWavesPerEU: 31
; Occupancy: 16
; WaveLimiterHint : 1
; COMPUTE_PGM_RSRC2:SCRATCH_EN: 0
; COMPUTE_PGM_RSRC2:USER_SGPR: 6
; COMPUTE_PGM_RSRC2:TRAP_HANDLER: 0
; COMPUTE_PGM_RSRC2:TGID_X_EN: 1
; COMPUTE_PGM_RSRC2:TGID_Y_EN: 0
; COMPUTE_PGM_RSRC2:TGID_Z_EN: 0
; COMPUTE_PGM_RSRC2:TIDIG_COMP_CNT: 0
	.section	.text._ZN9rocsparseL25kernel_correction_no_normILi1024ELi4EdiiEEvT3_T2_PKS2_S4_PKS1_PKT1_21rocsparse_index_base_S4_S4_S6_PS7_SA_S4_S4_S6_SB_SA_SB_,"axG",@progbits,_ZN9rocsparseL25kernel_correction_no_normILi1024ELi4EdiiEEvT3_T2_PKS2_S4_PKS1_PKT1_21rocsparse_index_base_S4_S4_S6_PS7_SA_S4_S4_S6_SB_SA_SB_,comdat
	.globl	_ZN9rocsparseL25kernel_correction_no_normILi1024ELi4EdiiEEvT3_T2_PKS2_S4_PKS1_PKT1_21rocsparse_index_base_S4_S4_S6_PS7_SA_S4_S4_S6_SB_SA_SB_ ; -- Begin function _ZN9rocsparseL25kernel_correction_no_normILi1024ELi4EdiiEEvT3_T2_PKS2_S4_PKS1_PKT1_21rocsparse_index_base_S4_S4_S6_PS7_SA_S4_S4_S6_SB_SA_SB_
	.p2align	8
	.type	_ZN9rocsparseL25kernel_correction_no_normILi1024ELi4EdiiEEvT3_T2_PKS2_S4_PKS1_PKT1_21rocsparse_index_base_S4_S4_S6_PS7_SA_S4_S4_S6_SB_SA_SB_,@function
_ZN9rocsparseL25kernel_correction_no_normILi1024ELi4EdiiEEvT3_T2_PKS2_S4_PKS1_PKT1_21rocsparse_index_base_S4_S4_S6_PS7_SA_S4_S4_S6_SB_SA_SB_: ; @_ZN9rocsparseL25kernel_correction_no_normILi1024ELi4EdiiEEvT3_T2_PKS2_S4_PKS1_PKT1_21rocsparse_index_base_S4_S4_S6_PS7_SA_S4_S4_S6_SB_SA_SB_
; %bb.0:
	s_load_dword s7, s[4:5], 0x0
	v_lshrrev_b32_e32 v1, 2, v0
	s_lshl_b32 s6, s6, 10
	s_mov_b32 s0, exec_lo
	v_or_b32_e32 v1, s6, v1
	s_waitcnt lgkmcnt(0)
	v_cmpx_gt_i32_e64 s7, v1
	s_cbranch_execz .LBB16_40
; %bb.1:
	s_addk_i32 s6, 0x400
	v_cmp_gt_u32_e32 vcc_lo, s6, v1
	s_and_b32 exec_lo, exec_lo, vcc_lo
	s_cbranch_execz .LBB16_40
; %bb.2:
	s_clause 0x6
	s_load_dword s33, s[4:5], 0x28
	s_load_dwordx8 s[8:15], s[4:5], 0x58
	s_load_dwordx8 s[16:23], s[4:5], 0x30
	;; [unrolled: 1-line block ×3, first 2 shown]
	s_load_dword s34, s[4:5], 0x50
	s_load_dwordx2 s[2:3], s[4:5], 0x80
	s_load_dword s4, s[4:5], 0x78
	v_and_b32_e32 v0, 3, v0
	v_mov_b32_e32 v3, 0
	s_mov_b32 s5, 0
	s_waitcnt lgkmcnt(0)
	v_subrev_nc_u32_e32 v0, s33, v0
	s_branch .LBB16_4
.LBB16_3:                               ;   in Loop: Header=BB16_4 Depth=1
	s_or_b32 exec_lo, exec_lo, s35
	v_add_nc_u32_e32 v1, 0x100, v1
	v_cmp_le_u32_e32 vcc_lo, s6, v1
	s_or_b32 s5, vcc_lo, s5
	s_andn2_b32 exec_lo, exec_lo, s5
	s_cbranch_execz .LBB16_40
.LBB16_4:                               ; =>This Loop Header: Depth=1
                                        ;     Child Loop BB16_8 Depth 2
                                        ;       Child Loop BB16_12 Depth 3
                                        ;       Child Loop BB16_26 Depth 3
	;; [unrolled: 1-line block ×3, first 2 shown]
	s_mov_b32 s35, exec_lo
	v_cmpx_gt_i32_e64 s7, v1
	s_cbranch_execz .LBB16_3
; %bb.5:                                ;   in Loop: Header=BB16_4 Depth=1
	v_ashrrev_i32_e32 v2, 31, v1
	v_lshlrev_b64 v[5:6], 2, v[1:2]
	v_add_co_u32 v7, vcc_lo, s24, v5
	v_add_co_ci_u32_e64 v8, null, s25, v6, vcc_lo
	v_add_co_u32 v9, vcc_lo, s26, v5
	v_add_co_ci_u32_e64 v10, null, s27, v6, vcc_lo
	global_load_dword v2, v[7:8], off
	global_load_dword v7, v[9:10], off
	s_waitcnt vmcnt(1)
	v_add_nc_u32_e32 v4, v0, v2
	s_waitcnt vmcnt(0)
	v_subrev_nc_u32_e32 v14, s33, v7
	v_cmp_lt_i32_e32 vcc_lo, v4, v14
	s_and_b32 exec_lo, exec_lo, vcc_lo
	s_cbranch_execz .LBB16_3
; %bb.6:                                ;   in Loop: Header=BB16_4 Depth=1
	v_add_co_u32 v7, vcc_lo, s16, v5
	v_add_co_ci_u32_e64 v8, null, s17, v6, vcc_lo
	v_add_co_u32 v5, vcc_lo, s18, v5
	v_add_co_ci_u32_e64 v6, null, s19, v6, vcc_lo
	global_load_dword v2, v[7:8], off
	s_mov_b32 s36, 0
	global_load_dword v5, v[5:6], off
	s_waitcnt vmcnt(1)
	v_subrev_nc_u32_e32 v6, s34, v2
	s_waitcnt vmcnt(0)
	v_sub_nc_u32_e32 v15, v5, v2
	v_ashrrev_i32_e32 v7, 31, v6
	v_cmp_lt_i32_e64 s0, 0, v15
	v_lshlrev_b64 v[8:9], 2, v[6:7]
	v_lshlrev_b64 v[10:11], 3, v[6:7]
	v_add_co_u32 v16, vcc_lo, s20, v8
	v_add_co_ci_u32_e64 v17, null, s21, v9, vcc_lo
	v_add_co_u32 v18, vcc_lo, s22, v10
	v_add_co_ci_u32_e64 v19, null, s23, v11, vcc_lo
	s_branch .LBB16_8
.LBB16_7:                               ;   in Loop: Header=BB16_8 Depth=2
	s_or_b32 exec_lo, exec_lo, s37
	v_add_nc_u32_e32 v4, 4, v4
	v_cmp_ge_i32_e32 vcc_lo, v4, v14
	s_or_b32 s36, vcc_lo, s36
	s_andn2_b32 exec_lo, exec_lo, s36
	s_cbranch_execz .LBB16_3
.LBB16_8:                               ;   Parent Loop BB16_4 Depth=1
                                        ; =>  This Loop Header: Depth=2
                                        ;       Child Loop BB16_12 Depth 3
                                        ;       Child Loop BB16_26 Depth 3
	;; [unrolled: 1-line block ×3, first 2 shown]
	v_ashrrev_i32_e32 v5, 31, v4
	v_lshlrev_b64 v[7:8], 2, v[4:5]
	v_add_co_u32 v7, vcc_lo, s28, v7
	v_add_co_ci_u32_e64 v8, null, s29, v8, vcc_lo
	global_load_dword v2, v[7:8], off
	s_waitcnt vmcnt(0)
	v_subrev_nc_u32_e32 v7, s33, v2
	v_ashrrev_i32_e32 v8, 31, v7
	v_lshlrev_b64 v[9:10], 2, v[7:8]
	v_add_co_u32 v11, vcc_lo, s8, v9
	v_add_co_ci_u32_e64 v12, null, s9, v10, vcc_lo
	v_add_co_u32 v9, vcc_lo, s10, v9
	v_add_co_ci_u32_e64 v10, null, s11, v10, vcc_lo
	global_load_dword v2, v[11:12], off
	global_load_dword v11, v[9:10], off
	v_mov_b32_e32 v10, 0
	v_mov_b32_e32 v12, 0
	;; [unrolled: 1-line block ×3, first 2 shown]
	s_waitcnt vmcnt(1)
	v_subrev_nc_u32_e32 v9, s4, v2
	s_waitcnt vmcnt(0)
	v_sub_nc_u32_e32 v20, v11, v2
	v_mov_b32_e32 v2, v10
	s_and_saveexec_b32 s37, s0
	s_cbranch_execz .LBB16_16
; %bb.9:                                ;   in Loop: Header=BB16_8 Depth=2
	v_ashrrev_i32_e32 v10, 31, v9
	v_mov_b32_e32 v12, 0
	v_mov_b32_e32 v13, 0
	;; [unrolled: 1-line block ×3, first 2 shown]
	s_mov_b32 s38, 0
	v_lshlrev_b64 v[21:22], 2, v[9:10]
	v_lshlrev_b64 v[10:11], 3, v[9:10]
                                        ; implicit-def: $sgpr39
	v_add_co_u32 v21, vcc_lo, s12, v21
	v_add_co_ci_u32_e64 v22, null, s13, v22, vcc_lo
	v_add_co_u32 v23, vcc_lo, s14, v10
	v_add_co_ci_u32_e64 v24, null, s15, v11, vcc_lo
	v_mov_b32_e32 v10, 0
	s_branch .LBB16_12
.LBB16_10:                              ;   in Loop: Header=BB16_12 Depth=3
	s_or_b32 exec_lo, exec_lo, s1
	v_cmp_le_i32_e32 vcc_lo, v25, v26
	v_cmp_ge_i32_e64 s1, v25, v26
	v_add_co_ci_u32_e64 v2, null, 0, v2, vcc_lo
	v_add_co_ci_u32_e64 v10, null, 0, v10, s1
	s_andn2_b32 s1, s39, exec_lo
	v_cmp_ge_i32_e32 vcc_lo, v2, v15
	s_and_b32 s39, vcc_lo, exec_lo
	s_or_b32 s39, s1, s39
.LBB16_11:                              ;   in Loop: Header=BB16_12 Depth=3
	s_or_b32 exec_lo, exec_lo, s40
	s_and_b32 s1, exec_lo, s39
	s_or_b32 s38, s1, s38
	s_andn2_b32 exec_lo, exec_lo, s38
	s_cbranch_execz .LBB16_15
.LBB16_12:                              ;   Parent Loop BB16_4 Depth=1
                                        ;     Parent Loop BB16_8 Depth=2
                                        ; =>    This Inner Loop Header: Depth=3
	s_or_b32 s39, s39, exec_lo
	s_mov_b32 s40, exec_lo
	v_cmpx_lt_i32_e64 v10, v20
	s_cbranch_execz .LBB16_11
; %bb.13:                               ;   in Loop: Header=BB16_12 Depth=3
	v_mov_b32_e32 v11, v3
	v_lshlrev_b64 v[25:26], 2, v[2:3]
	s_mov_b32 s1, exec_lo
	v_lshlrev_b64 v[27:28], 2, v[10:11]
	v_add_co_u32 v25, vcc_lo, v16, v25
	v_add_co_ci_u32_e64 v26, null, v17, v26, vcc_lo
	v_add_co_u32 v27, vcc_lo, v21, v27
	v_add_co_ci_u32_e64 v28, null, v22, v28, vcc_lo
	global_load_dword v25, v[25:26], off
	global_load_dword v26, v[27:28], off
	s_waitcnt vmcnt(1)
	v_subrev_nc_u32_e32 v25, s34, v25
	s_waitcnt vmcnt(0)
	v_subrev_nc_u32_e32 v26, s4, v26
	v_cmpx_eq_u32_e64 v25, v26
	s_cbranch_execz .LBB16_10
; %bb.14:                               ;   in Loop: Header=BB16_12 Depth=3
	v_lshlrev_b64 v[27:28], 3, v[2:3]
	v_lshlrev_b64 v[29:30], 3, v[10:11]
	v_add_co_u32 v27, vcc_lo, v18, v27
	v_add_co_ci_u32_e64 v28, null, v19, v28, vcc_lo
	v_add_co_u32 v29, vcc_lo, v23, v29
	v_add_co_ci_u32_e64 v30, null, v24, v30, vcc_lo
	global_load_dwordx2 v[27:28], v[27:28], off
	global_load_dwordx2 v[29:30], v[29:30], off
	s_waitcnt vmcnt(0)
	v_fma_f64 v[12:13], v[27:28], v[29:30], v[12:13]
	s_branch .LBB16_10
.LBB16_15:                              ;   in Loop: Header=BB16_8 Depth=2
	s_or_b32 exec_lo, exec_lo, s38
.LBB16_16:                              ;   in Loop: Header=BB16_8 Depth=2
	s_or_b32 exec_lo, exec_lo, s37
	v_lshlrev_b64 v[21:22], 3, v[4:5]
	v_cmp_le_i32_e64 s1, v1, v7
	s_mov_b32 s37, exec_lo
	v_add_co_u32 v21, vcc_lo, s30, v21
	v_add_co_ci_u32_e64 v22, null, s31, v22, vcc_lo
	global_load_dwordx2 v[21:22], v[21:22], off
	s_waitcnt vmcnt(0)
	v_add_f64 v[11:12], v[21:22], -v[12:13]
	v_cmpx_gt_i32_e64 v1, v7
	s_cbranch_execz .LBB16_18
; %bb.17:                               ;   in Loop: Header=BB16_8 Depth=2
	v_lshlrev_b64 v[21:22], 3, v[7:8]
	v_add_co_u32 v21, vcc_lo, s2, v21
	v_add_co_ci_u32_e64 v22, null, s3, v22, vcc_lo
	global_load_dwordx2 v[21:22], v[21:22], off
	s_waitcnt vmcnt(0)
	v_div_scale_f64 v[23:24], null, v[21:22], v[21:22], v[11:12]
	v_rcp_f64_e32 v[25:26], v[23:24]
	v_fma_f64 v[27:28], -v[23:24], v[25:26], 1.0
	v_fma_f64 v[25:26], v[25:26], v[27:28], v[25:26]
	v_fma_f64 v[27:28], -v[23:24], v[25:26], 1.0
	v_fma_f64 v[25:26], v[25:26], v[27:28], v[25:26]
	v_div_scale_f64 v[27:28], vcc_lo, v[11:12], v[21:22], v[11:12]
	v_mul_f64 v[29:30], v[27:28], v[25:26]
	v_fma_f64 v[23:24], -v[23:24], v[29:30], v[27:28]
	v_div_fmas_f64 v[23:24], v[23:24], v[25:26], v[29:30]
	v_div_fixup_f64 v[11:12], v[23:24], v[21:22], v[11:12]
.LBB16_18:                              ;   in Loop: Header=BB16_8 Depth=2
	s_or_b32 exec_lo, exec_lo, s37
	v_cmp_class_f64_e64 s38, v[11:12], 0x1f8
	s_and_saveexec_b32 s37, s38
	s_cbranch_execz .LBB16_7
; %bb.19:                               ;   in Loop: Header=BB16_8 Depth=2
	s_and_saveexec_b32 s38, s1
	s_xor_b32 s1, exec_lo, s38
	s_cbranch_execz .LBB16_32
; %bb.20:                               ;   in Loop: Header=BB16_8 Depth=2
	s_mov_b32 s38, exec_lo
	v_cmpx_ge_i32_e64 v1, v7
	s_xor_b32 s38, exec_lo, s38
	s_cbranch_execz .LBB16_22
; %bb.21:                               ;   in Loop: Header=BB16_8 Depth=2
	v_lshlrev_b64 v[7:8], 3, v[7:8]
                                        ; implicit-def: $vgpr10
                                        ; implicit-def: $vgpr20
                                        ; implicit-def: $vgpr9
	v_add_co_u32 v7, vcc_lo, s2, v7
	v_add_co_ci_u32_e64 v8, null, s3, v8, vcc_lo
	global_store_dwordx2 v[7:8], v[11:12], off
                                        ; implicit-def: $vgpr11_vgpr12
.LBB16_22:                              ;   in Loop: Header=BB16_8 Depth=2
	s_andn2_saveexec_b32 s38, s38
	s_cbranch_execz .LBB16_31
; %bb.23:                               ;   in Loop: Header=BB16_8 Depth=2
	s_mov_b32 s39, exec_lo
	v_cmpx_lt_i32_e64 v10, v20
	s_cbranch_execz .LBB16_30
; %bb.24:                               ;   in Loop: Header=BB16_8 Depth=2
	s_mov_b32 s40, 0
                                        ; implicit-def: $sgpr41
                                        ; implicit-def: $sgpr43
                                        ; implicit-def: $sgpr42
	s_inst_prefetch 0x1
	s_branch .LBB16_26
	.p2align	6
.LBB16_25:                              ;   in Loop: Header=BB16_26 Depth=3
	s_or_b32 exec_lo, exec_lo, s44
	s_and_b32 s44, exec_lo, s43
	s_or_b32 s40, s44, s40
	s_andn2_b32 s41, s41, exec_lo
	s_and_b32 s44, s42, exec_lo
	s_or_b32 s41, s41, s44
	s_andn2_b32 exec_lo, exec_lo, s40
	s_cbranch_execz .LBB16_28
.LBB16_26:                              ;   Parent Loop BB16_4 Depth=1
                                        ;     Parent Loop BB16_8 Depth=2
                                        ; =>    This Inner Loop Header: Depth=3
	v_add_nc_u32_e32 v7, v9, v10
	s_or_b32 s42, s42, exec_lo
	s_or_b32 s43, s43, exec_lo
	s_mov_b32 s44, exec_lo
	v_ashrrev_i32_e32 v8, 31, v7
	v_lshlrev_b64 v[21:22], 2, v[7:8]
	v_add_co_u32 v21, vcc_lo, s12, v21
	v_add_co_ci_u32_e64 v22, null, s13, v22, vcc_lo
	global_load_dword v2, v[21:22], off
	s_waitcnt vmcnt(0)
	v_subrev_nc_u32_e32 v2, s4, v2
	v_cmpx_ne_u32_e64 v2, v1
	s_cbranch_execz .LBB16_25
; %bb.27:                               ;   in Loop: Header=BB16_26 Depth=3
	v_add_nc_u32_e32 v10, 1, v10
	s_andn2_b32 s43, s43, exec_lo
	s_andn2_b32 s42, s42, exec_lo
	v_cmp_ge_i32_e32 vcc_lo, v10, v20
	s_and_b32 s45, vcc_lo, exec_lo
	s_or_b32 s43, s43, s45
	s_branch .LBB16_25
.LBB16_28:                              ;   in Loop: Header=BB16_8 Depth=2
	s_inst_prefetch 0x2
	s_or_b32 exec_lo, exec_lo, s40
	s_and_saveexec_b32 s40, s41
	s_xor_b32 s40, exec_lo, s40
	s_cbranch_execz .LBB16_30
; %bb.29:                               ;   in Loop: Header=BB16_8 Depth=2
	v_lshlrev_b64 v[7:8], 3, v[7:8]
	v_add_co_u32 v7, vcc_lo, s14, v7
	v_add_co_ci_u32_e64 v8, null, s15, v8, vcc_lo
	global_store_dwordx2 v[7:8], v[11:12], off
.LBB16_30:                              ;   in Loop: Header=BB16_8 Depth=2
	s_or_b32 exec_lo, exec_lo, s39
.LBB16_31:                              ;   in Loop: Header=BB16_8 Depth=2
	s_or_b32 exec_lo, exec_lo, s38
                                        ; implicit-def: $vgpr11_vgpr12
                                        ; implicit-def: $vgpr7_vgpr8
.LBB16_32:                              ;   in Loop: Header=BB16_8 Depth=2
	s_andn2_saveexec_b32 s1, s1
	s_cbranch_execz .LBB16_7
; %bb.33:                               ;   in Loop: Header=BB16_8 Depth=2
	v_cmp_lt_i32_e32 vcc_lo, v2, v15
	s_and_b32 exec_lo, exec_lo, vcc_lo
	s_cbranch_execz .LBB16_7
; %bb.34:                               ;   in Loop: Header=BB16_8 Depth=2
	s_mov_b32 s1, 0
                                        ; implicit-def: $sgpr38
                                        ; implicit-def: $sgpr40
                                        ; implicit-def: $sgpr39
	s_inst_prefetch 0x1
	s_branch .LBB16_36
	.p2align	6
.LBB16_35:                              ;   in Loop: Header=BB16_36 Depth=3
	s_or_b32 exec_lo, exec_lo, s41
	s_and_b32 s41, exec_lo, s40
	s_or_b32 s1, s41, s1
	s_andn2_b32 s38, s38, exec_lo
	s_and_b32 s41, s39, exec_lo
	s_or_b32 s38, s38, s41
	s_andn2_b32 exec_lo, exec_lo, s1
	s_cbranch_execz .LBB16_38
.LBB16_36:                              ;   Parent Loop BB16_4 Depth=1
                                        ;     Parent Loop BB16_8 Depth=2
                                        ; =>    This Inner Loop Header: Depth=3
	v_add_nc_u32_e32 v8, v6, v2
	s_or_b32 s39, s39, exec_lo
	s_or_b32 s40, s40, exec_lo
	s_mov_b32 s41, exec_lo
	v_ashrrev_i32_e32 v9, 31, v8
	v_lshlrev_b64 v[20:21], 2, v[8:9]
	v_add_co_u32 v20, vcc_lo, s20, v20
	v_add_co_ci_u32_e64 v21, null, s21, v21, vcc_lo
	global_load_dword v5, v[20:21], off
	s_waitcnt vmcnt(0)
	v_subrev_nc_u32_e32 v5, s34, v5
	v_cmpx_ne_u32_e64 v5, v7
	s_cbranch_execz .LBB16_35
; %bb.37:                               ;   in Loop: Header=BB16_36 Depth=3
	v_add_nc_u32_e32 v2, 1, v2
	s_andn2_b32 s40, s40, exec_lo
	s_andn2_b32 s39, s39, exec_lo
	v_cmp_ge_i32_e32 vcc_lo, v2, v15
	s_and_b32 s42, vcc_lo, exec_lo
	s_or_b32 s40, s40, s42
	s_branch .LBB16_35
.LBB16_38:                              ;   in Loop: Header=BB16_8 Depth=2
	s_inst_prefetch 0x2
	s_or_b32 exec_lo, exec_lo, s1
	s_and_saveexec_b32 s1, s38
	s_xor_b32 s1, exec_lo, s1
	s_cbranch_execz .LBB16_7
; %bb.39:                               ;   in Loop: Header=BB16_8 Depth=2
	v_lshlrev_b64 v[7:8], 3, v[8:9]
	v_add_co_u32 v7, vcc_lo, s22, v7
	v_add_co_ci_u32_e64 v8, null, s23, v8, vcc_lo
	global_store_dwordx2 v[7:8], v[11:12], off
	s_branch .LBB16_7
.LBB16_40:
	s_endpgm
	.section	.rodata,"a",@progbits
	.p2align	6, 0x0
	.amdhsa_kernel _ZN9rocsparseL25kernel_correction_no_normILi1024ELi4EdiiEEvT3_T2_PKS2_S4_PKS1_PKT1_21rocsparse_index_base_S4_S4_S6_PS7_SA_S4_S4_S6_SB_SA_SB_
		.amdhsa_group_segment_fixed_size 0
		.amdhsa_private_segment_fixed_size 0
		.amdhsa_kernarg_size 136
		.amdhsa_user_sgpr_count 6
		.amdhsa_user_sgpr_private_segment_buffer 1
		.amdhsa_user_sgpr_dispatch_ptr 0
		.amdhsa_user_sgpr_queue_ptr 0
		.amdhsa_user_sgpr_kernarg_segment_ptr 1
		.amdhsa_user_sgpr_dispatch_id 0
		.amdhsa_user_sgpr_flat_scratch_init 0
		.amdhsa_user_sgpr_private_segment_size 0
		.amdhsa_wavefront_size32 1
		.amdhsa_uses_dynamic_stack 0
		.amdhsa_system_sgpr_private_segment_wavefront_offset 0
		.amdhsa_system_sgpr_workgroup_id_x 1
		.amdhsa_system_sgpr_workgroup_id_y 0
		.amdhsa_system_sgpr_workgroup_id_z 0
		.amdhsa_system_sgpr_workgroup_info 0
		.amdhsa_system_vgpr_workitem_id 0
		.amdhsa_next_free_vgpr 31
		.amdhsa_next_free_sgpr 46
		.amdhsa_reserve_vcc 1
		.amdhsa_reserve_flat_scratch 0
		.amdhsa_float_round_mode_32 0
		.amdhsa_float_round_mode_16_64 0
		.amdhsa_float_denorm_mode_32 3
		.amdhsa_float_denorm_mode_16_64 3
		.amdhsa_dx10_clamp 1
		.amdhsa_ieee_mode 1
		.amdhsa_fp16_overflow 0
		.amdhsa_workgroup_processor_mode 1
		.amdhsa_memory_ordered 1
		.amdhsa_forward_progress 1
		.amdhsa_shared_vgpr_count 0
		.amdhsa_exception_fp_ieee_invalid_op 0
		.amdhsa_exception_fp_denorm_src 0
		.amdhsa_exception_fp_ieee_div_zero 0
		.amdhsa_exception_fp_ieee_overflow 0
		.amdhsa_exception_fp_ieee_underflow 0
		.amdhsa_exception_fp_ieee_inexact 0
		.amdhsa_exception_int_div_zero 0
	.end_amdhsa_kernel
	.section	.text._ZN9rocsparseL25kernel_correction_no_normILi1024ELi4EdiiEEvT3_T2_PKS2_S4_PKS1_PKT1_21rocsparse_index_base_S4_S4_S6_PS7_SA_S4_S4_S6_SB_SA_SB_,"axG",@progbits,_ZN9rocsparseL25kernel_correction_no_normILi1024ELi4EdiiEEvT3_T2_PKS2_S4_PKS1_PKT1_21rocsparse_index_base_S4_S4_S6_PS7_SA_S4_S4_S6_SB_SA_SB_,comdat
.Lfunc_end16:
	.size	_ZN9rocsparseL25kernel_correction_no_normILi1024ELi4EdiiEEvT3_T2_PKS2_S4_PKS1_PKT1_21rocsparse_index_base_S4_S4_S6_PS7_SA_S4_S4_S6_SB_SA_SB_, .Lfunc_end16-_ZN9rocsparseL25kernel_correction_no_normILi1024ELi4EdiiEEvT3_T2_PKS2_S4_PKS1_PKT1_21rocsparse_index_base_S4_S4_S6_PS7_SA_S4_S4_S6_SB_SA_SB_
                                        ; -- End function
	.set _ZN9rocsparseL25kernel_correction_no_normILi1024ELi4EdiiEEvT3_T2_PKS2_S4_PKS1_PKT1_21rocsparse_index_base_S4_S4_S6_PS7_SA_S4_S4_S6_SB_SA_SB_.num_vgpr, 31
	.set _ZN9rocsparseL25kernel_correction_no_normILi1024ELi4EdiiEEvT3_T2_PKS2_S4_PKS1_PKT1_21rocsparse_index_base_S4_S4_S6_PS7_SA_S4_S4_S6_SB_SA_SB_.num_agpr, 0
	.set _ZN9rocsparseL25kernel_correction_no_normILi1024ELi4EdiiEEvT3_T2_PKS2_S4_PKS1_PKT1_21rocsparse_index_base_S4_S4_S6_PS7_SA_S4_S4_S6_SB_SA_SB_.numbered_sgpr, 46
	.set _ZN9rocsparseL25kernel_correction_no_normILi1024ELi4EdiiEEvT3_T2_PKS2_S4_PKS1_PKT1_21rocsparse_index_base_S4_S4_S6_PS7_SA_S4_S4_S6_SB_SA_SB_.num_named_barrier, 0
	.set _ZN9rocsparseL25kernel_correction_no_normILi1024ELi4EdiiEEvT3_T2_PKS2_S4_PKS1_PKT1_21rocsparse_index_base_S4_S4_S6_PS7_SA_S4_S4_S6_SB_SA_SB_.private_seg_size, 0
	.set _ZN9rocsparseL25kernel_correction_no_normILi1024ELi4EdiiEEvT3_T2_PKS2_S4_PKS1_PKT1_21rocsparse_index_base_S4_S4_S6_PS7_SA_S4_S4_S6_SB_SA_SB_.uses_vcc, 1
	.set _ZN9rocsparseL25kernel_correction_no_normILi1024ELi4EdiiEEvT3_T2_PKS2_S4_PKS1_PKT1_21rocsparse_index_base_S4_S4_S6_PS7_SA_S4_S4_S6_SB_SA_SB_.uses_flat_scratch, 0
	.set _ZN9rocsparseL25kernel_correction_no_normILi1024ELi4EdiiEEvT3_T2_PKS2_S4_PKS1_PKT1_21rocsparse_index_base_S4_S4_S6_PS7_SA_S4_S4_S6_SB_SA_SB_.has_dyn_sized_stack, 0
	.set _ZN9rocsparseL25kernel_correction_no_normILi1024ELi4EdiiEEvT3_T2_PKS2_S4_PKS1_PKT1_21rocsparse_index_base_S4_S4_S6_PS7_SA_S4_S4_S6_SB_SA_SB_.has_recursion, 0
	.set _ZN9rocsparseL25kernel_correction_no_normILi1024ELi4EdiiEEvT3_T2_PKS2_S4_PKS1_PKT1_21rocsparse_index_base_S4_S4_S6_PS7_SA_S4_S4_S6_SB_SA_SB_.has_indirect_call, 0
	.section	.AMDGPU.csdata,"",@progbits
; Kernel info:
; codeLenInByte = 1728
; TotalNumSgprs: 48
; NumVgprs: 31
; ScratchSize: 0
; MemoryBound: 1
; FloatMode: 240
; IeeeMode: 1
; LDSByteSize: 0 bytes/workgroup (compile time only)
; SGPRBlocks: 0
; VGPRBlocks: 3
; NumSGPRsForWavesPerEU: 48
; NumVGPRsForWavesPerEU: 31
; Occupancy: 16
; WaveLimiterHint : 1
; COMPUTE_PGM_RSRC2:SCRATCH_EN: 0
; COMPUTE_PGM_RSRC2:USER_SGPR: 6
; COMPUTE_PGM_RSRC2:TRAP_HANDLER: 0
; COMPUTE_PGM_RSRC2:TGID_X_EN: 1
; COMPUTE_PGM_RSRC2:TGID_Y_EN: 0
; COMPUTE_PGM_RSRC2:TGID_Z_EN: 0
; COMPUTE_PGM_RSRC2:TIDIG_COMP_CNT: 0
	.section	.text._ZN9rocsparseL25kernel_correction_no_normILi1024ELi8EdiiEEvT3_T2_PKS2_S4_PKS1_PKT1_21rocsparse_index_base_S4_S4_S6_PS7_SA_S4_S4_S6_SB_SA_SB_,"axG",@progbits,_ZN9rocsparseL25kernel_correction_no_normILi1024ELi8EdiiEEvT3_T2_PKS2_S4_PKS1_PKT1_21rocsparse_index_base_S4_S4_S6_PS7_SA_S4_S4_S6_SB_SA_SB_,comdat
	.globl	_ZN9rocsparseL25kernel_correction_no_normILi1024ELi8EdiiEEvT3_T2_PKS2_S4_PKS1_PKT1_21rocsparse_index_base_S4_S4_S6_PS7_SA_S4_S4_S6_SB_SA_SB_ ; -- Begin function _ZN9rocsparseL25kernel_correction_no_normILi1024ELi8EdiiEEvT3_T2_PKS2_S4_PKS1_PKT1_21rocsparse_index_base_S4_S4_S6_PS7_SA_S4_S4_S6_SB_SA_SB_
	.p2align	8
	.type	_ZN9rocsparseL25kernel_correction_no_normILi1024ELi8EdiiEEvT3_T2_PKS2_S4_PKS1_PKT1_21rocsparse_index_base_S4_S4_S6_PS7_SA_S4_S4_S6_SB_SA_SB_,@function
_ZN9rocsparseL25kernel_correction_no_normILi1024ELi8EdiiEEvT3_T2_PKS2_S4_PKS1_PKT1_21rocsparse_index_base_S4_S4_S6_PS7_SA_S4_S4_S6_SB_SA_SB_: ; @_ZN9rocsparseL25kernel_correction_no_normILi1024ELi8EdiiEEvT3_T2_PKS2_S4_PKS1_PKT1_21rocsparse_index_base_S4_S4_S6_PS7_SA_S4_S4_S6_SB_SA_SB_
; %bb.0:
	s_load_dword s7, s[4:5], 0x0
	v_lshrrev_b32_e32 v1, 3, v0
	s_lshl_b32 s6, s6, 10
	s_mov_b32 s0, exec_lo
	v_or_b32_e32 v1, s6, v1
	s_waitcnt lgkmcnt(0)
	v_cmpx_gt_i32_e64 s7, v1
	s_cbranch_execz .LBB17_40
; %bb.1:
	s_addk_i32 s6, 0x400
	v_cmp_gt_u32_e32 vcc_lo, s6, v1
	s_and_b32 exec_lo, exec_lo, vcc_lo
	s_cbranch_execz .LBB17_40
; %bb.2:
	s_clause 0x6
	s_load_dword s33, s[4:5], 0x28
	s_load_dwordx8 s[8:15], s[4:5], 0x58
	s_load_dwordx8 s[16:23], s[4:5], 0x30
	;; [unrolled: 1-line block ×3, first 2 shown]
	s_load_dword s34, s[4:5], 0x50
	s_load_dwordx2 s[2:3], s[4:5], 0x80
	s_load_dword s4, s[4:5], 0x78
	v_and_b32_e32 v0, 7, v0
	v_mov_b32_e32 v3, 0
	s_mov_b32 s5, 0
	s_waitcnt lgkmcnt(0)
	v_subrev_nc_u32_e32 v0, s33, v0
	s_branch .LBB17_4
.LBB17_3:                               ;   in Loop: Header=BB17_4 Depth=1
	s_or_b32 exec_lo, exec_lo, s35
	v_add_nc_u32_e32 v1, 0x80, v1
	v_cmp_le_u32_e32 vcc_lo, s6, v1
	s_or_b32 s5, vcc_lo, s5
	s_andn2_b32 exec_lo, exec_lo, s5
	s_cbranch_execz .LBB17_40
.LBB17_4:                               ; =>This Loop Header: Depth=1
                                        ;     Child Loop BB17_8 Depth 2
                                        ;       Child Loop BB17_12 Depth 3
                                        ;       Child Loop BB17_26 Depth 3
	;; [unrolled: 1-line block ×3, first 2 shown]
	s_mov_b32 s35, exec_lo
	v_cmpx_gt_i32_e64 s7, v1
	s_cbranch_execz .LBB17_3
; %bb.5:                                ;   in Loop: Header=BB17_4 Depth=1
	v_ashrrev_i32_e32 v2, 31, v1
	v_lshlrev_b64 v[5:6], 2, v[1:2]
	v_add_co_u32 v7, vcc_lo, s24, v5
	v_add_co_ci_u32_e64 v8, null, s25, v6, vcc_lo
	v_add_co_u32 v9, vcc_lo, s26, v5
	v_add_co_ci_u32_e64 v10, null, s27, v6, vcc_lo
	global_load_dword v2, v[7:8], off
	global_load_dword v7, v[9:10], off
	s_waitcnt vmcnt(1)
	v_add_nc_u32_e32 v4, v0, v2
	s_waitcnt vmcnt(0)
	v_subrev_nc_u32_e32 v14, s33, v7
	v_cmp_lt_i32_e32 vcc_lo, v4, v14
	s_and_b32 exec_lo, exec_lo, vcc_lo
	s_cbranch_execz .LBB17_3
; %bb.6:                                ;   in Loop: Header=BB17_4 Depth=1
	v_add_co_u32 v7, vcc_lo, s16, v5
	v_add_co_ci_u32_e64 v8, null, s17, v6, vcc_lo
	v_add_co_u32 v5, vcc_lo, s18, v5
	v_add_co_ci_u32_e64 v6, null, s19, v6, vcc_lo
	global_load_dword v2, v[7:8], off
	s_mov_b32 s36, 0
	global_load_dword v5, v[5:6], off
	s_waitcnt vmcnt(1)
	v_subrev_nc_u32_e32 v6, s34, v2
	s_waitcnt vmcnt(0)
	v_sub_nc_u32_e32 v15, v5, v2
	v_ashrrev_i32_e32 v7, 31, v6
	v_cmp_lt_i32_e64 s0, 0, v15
	v_lshlrev_b64 v[8:9], 2, v[6:7]
	v_lshlrev_b64 v[10:11], 3, v[6:7]
	v_add_co_u32 v16, vcc_lo, s20, v8
	v_add_co_ci_u32_e64 v17, null, s21, v9, vcc_lo
	v_add_co_u32 v18, vcc_lo, s22, v10
	v_add_co_ci_u32_e64 v19, null, s23, v11, vcc_lo
	s_branch .LBB17_8
.LBB17_7:                               ;   in Loop: Header=BB17_8 Depth=2
	s_or_b32 exec_lo, exec_lo, s37
	v_add_nc_u32_e32 v4, 8, v4
	v_cmp_ge_i32_e32 vcc_lo, v4, v14
	s_or_b32 s36, vcc_lo, s36
	s_andn2_b32 exec_lo, exec_lo, s36
	s_cbranch_execz .LBB17_3
.LBB17_8:                               ;   Parent Loop BB17_4 Depth=1
                                        ; =>  This Loop Header: Depth=2
                                        ;       Child Loop BB17_12 Depth 3
                                        ;       Child Loop BB17_26 Depth 3
	;; [unrolled: 1-line block ×3, first 2 shown]
	v_ashrrev_i32_e32 v5, 31, v4
	v_lshlrev_b64 v[7:8], 2, v[4:5]
	v_add_co_u32 v7, vcc_lo, s28, v7
	v_add_co_ci_u32_e64 v8, null, s29, v8, vcc_lo
	global_load_dword v2, v[7:8], off
	s_waitcnt vmcnt(0)
	v_subrev_nc_u32_e32 v7, s33, v2
	v_ashrrev_i32_e32 v8, 31, v7
	v_lshlrev_b64 v[9:10], 2, v[7:8]
	v_add_co_u32 v11, vcc_lo, s8, v9
	v_add_co_ci_u32_e64 v12, null, s9, v10, vcc_lo
	v_add_co_u32 v9, vcc_lo, s10, v9
	v_add_co_ci_u32_e64 v10, null, s11, v10, vcc_lo
	global_load_dword v2, v[11:12], off
	global_load_dword v11, v[9:10], off
	v_mov_b32_e32 v10, 0
	v_mov_b32_e32 v12, 0
	;; [unrolled: 1-line block ×3, first 2 shown]
	s_waitcnt vmcnt(1)
	v_subrev_nc_u32_e32 v9, s4, v2
	s_waitcnt vmcnt(0)
	v_sub_nc_u32_e32 v20, v11, v2
	v_mov_b32_e32 v2, v10
	s_and_saveexec_b32 s37, s0
	s_cbranch_execz .LBB17_16
; %bb.9:                                ;   in Loop: Header=BB17_8 Depth=2
	v_ashrrev_i32_e32 v10, 31, v9
	v_mov_b32_e32 v12, 0
	v_mov_b32_e32 v13, 0
	;; [unrolled: 1-line block ×3, first 2 shown]
	s_mov_b32 s38, 0
	v_lshlrev_b64 v[21:22], 2, v[9:10]
	v_lshlrev_b64 v[10:11], 3, v[9:10]
                                        ; implicit-def: $sgpr39
	v_add_co_u32 v21, vcc_lo, s12, v21
	v_add_co_ci_u32_e64 v22, null, s13, v22, vcc_lo
	v_add_co_u32 v23, vcc_lo, s14, v10
	v_add_co_ci_u32_e64 v24, null, s15, v11, vcc_lo
	v_mov_b32_e32 v10, 0
	s_branch .LBB17_12
.LBB17_10:                              ;   in Loop: Header=BB17_12 Depth=3
	s_or_b32 exec_lo, exec_lo, s1
	v_cmp_le_i32_e32 vcc_lo, v25, v26
	v_cmp_ge_i32_e64 s1, v25, v26
	v_add_co_ci_u32_e64 v2, null, 0, v2, vcc_lo
	v_add_co_ci_u32_e64 v10, null, 0, v10, s1
	s_andn2_b32 s1, s39, exec_lo
	v_cmp_ge_i32_e32 vcc_lo, v2, v15
	s_and_b32 s39, vcc_lo, exec_lo
	s_or_b32 s39, s1, s39
.LBB17_11:                              ;   in Loop: Header=BB17_12 Depth=3
	s_or_b32 exec_lo, exec_lo, s40
	s_and_b32 s1, exec_lo, s39
	s_or_b32 s38, s1, s38
	s_andn2_b32 exec_lo, exec_lo, s38
	s_cbranch_execz .LBB17_15
.LBB17_12:                              ;   Parent Loop BB17_4 Depth=1
                                        ;     Parent Loop BB17_8 Depth=2
                                        ; =>    This Inner Loop Header: Depth=3
	s_or_b32 s39, s39, exec_lo
	s_mov_b32 s40, exec_lo
	v_cmpx_lt_i32_e64 v10, v20
	s_cbranch_execz .LBB17_11
; %bb.13:                               ;   in Loop: Header=BB17_12 Depth=3
	v_mov_b32_e32 v11, v3
	v_lshlrev_b64 v[25:26], 2, v[2:3]
	s_mov_b32 s1, exec_lo
	v_lshlrev_b64 v[27:28], 2, v[10:11]
	v_add_co_u32 v25, vcc_lo, v16, v25
	v_add_co_ci_u32_e64 v26, null, v17, v26, vcc_lo
	v_add_co_u32 v27, vcc_lo, v21, v27
	v_add_co_ci_u32_e64 v28, null, v22, v28, vcc_lo
	global_load_dword v25, v[25:26], off
	global_load_dword v26, v[27:28], off
	s_waitcnt vmcnt(1)
	v_subrev_nc_u32_e32 v25, s34, v25
	s_waitcnt vmcnt(0)
	v_subrev_nc_u32_e32 v26, s4, v26
	v_cmpx_eq_u32_e64 v25, v26
	s_cbranch_execz .LBB17_10
; %bb.14:                               ;   in Loop: Header=BB17_12 Depth=3
	v_lshlrev_b64 v[27:28], 3, v[2:3]
	v_lshlrev_b64 v[29:30], 3, v[10:11]
	v_add_co_u32 v27, vcc_lo, v18, v27
	v_add_co_ci_u32_e64 v28, null, v19, v28, vcc_lo
	v_add_co_u32 v29, vcc_lo, v23, v29
	v_add_co_ci_u32_e64 v30, null, v24, v30, vcc_lo
	global_load_dwordx2 v[27:28], v[27:28], off
	global_load_dwordx2 v[29:30], v[29:30], off
	s_waitcnt vmcnt(0)
	v_fma_f64 v[12:13], v[27:28], v[29:30], v[12:13]
	s_branch .LBB17_10
.LBB17_15:                              ;   in Loop: Header=BB17_8 Depth=2
	s_or_b32 exec_lo, exec_lo, s38
.LBB17_16:                              ;   in Loop: Header=BB17_8 Depth=2
	s_or_b32 exec_lo, exec_lo, s37
	v_lshlrev_b64 v[21:22], 3, v[4:5]
	v_cmp_le_i32_e64 s1, v1, v7
	s_mov_b32 s37, exec_lo
	v_add_co_u32 v21, vcc_lo, s30, v21
	v_add_co_ci_u32_e64 v22, null, s31, v22, vcc_lo
	global_load_dwordx2 v[21:22], v[21:22], off
	s_waitcnt vmcnt(0)
	v_add_f64 v[11:12], v[21:22], -v[12:13]
	v_cmpx_gt_i32_e64 v1, v7
	s_cbranch_execz .LBB17_18
; %bb.17:                               ;   in Loop: Header=BB17_8 Depth=2
	v_lshlrev_b64 v[21:22], 3, v[7:8]
	v_add_co_u32 v21, vcc_lo, s2, v21
	v_add_co_ci_u32_e64 v22, null, s3, v22, vcc_lo
	global_load_dwordx2 v[21:22], v[21:22], off
	s_waitcnt vmcnt(0)
	v_div_scale_f64 v[23:24], null, v[21:22], v[21:22], v[11:12]
	v_rcp_f64_e32 v[25:26], v[23:24]
	v_fma_f64 v[27:28], -v[23:24], v[25:26], 1.0
	v_fma_f64 v[25:26], v[25:26], v[27:28], v[25:26]
	v_fma_f64 v[27:28], -v[23:24], v[25:26], 1.0
	v_fma_f64 v[25:26], v[25:26], v[27:28], v[25:26]
	v_div_scale_f64 v[27:28], vcc_lo, v[11:12], v[21:22], v[11:12]
	v_mul_f64 v[29:30], v[27:28], v[25:26]
	v_fma_f64 v[23:24], -v[23:24], v[29:30], v[27:28]
	v_div_fmas_f64 v[23:24], v[23:24], v[25:26], v[29:30]
	v_div_fixup_f64 v[11:12], v[23:24], v[21:22], v[11:12]
.LBB17_18:                              ;   in Loop: Header=BB17_8 Depth=2
	s_or_b32 exec_lo, exec_lo, s37
	v_cmp_class_f64_e64 s38, v[11:12], 0x1f8
	s_and_saveexec_b32 s37, s38
	s_cbranch_execz .LBB17_7
; %bb.19:                               ;   in Loop: Header=BB17_8 Depth=2
	s_and_saveexec_b32 s38, s1
	s_xor_b32 s1, exec_lo, s38
	s_cbranch_execz .LBB17_32
; %bb.20:                               ;   in Loop: Header=BB17_8 Depth=2
	s_mov_b32 s38, exec_lo
	v_cmpx_ge_i32_e64 v1, v7
	s_xor_b32 s38, exec_lo, s38
	s_cbranch_execz .LBB17_22
; %bb.21:                               ;   in Loop: Header=BB17_8 Depth=2
	v_lshlrev_b64 v[7:8], 3, v[7:8]
                                        ; implicit-def: $vgpr10
                                        ; implicit-def: $vgpr20
                                        ; implicit-def: $vgpr9
	v_add_co_u32 v7, vcc_lo, s2, v7
	v_add_co_ci_u32_e64 v8, null, s3, v8, vcc_lo
	global_store_dwordx2 v[7:8], v[11:12], off
                                        ; implicit-def: $vgpr11_vgpr12
.LBB17_22:                              ;   in Loop: Header=BB17_8 Depth=2
	s_andn2_saveexec_b32 s38, s38
	s_cbranch_execz .LBB17_31
; %bb.23:                               ;   in Loop: Header=BB17_8 Depth=2
	s_mov_b32 s39, exec_lo
	v_cmpx_lt_i32_e64 v10, v20
	s_cbranch_execz .LBB17_30
; %bb.24:                               ;   in Loop: Header=BB17_8 Depth=2
	s_mov_b32 s40, 0
                                        ; implicit-def: $sgpr41
                                        ; implicit-def: $sgpr43
                                        ; implicit-def: $sgpr42
	s_inst_prefetch 0x1
	s_branch .LBB17_26
	.p2align	6
.LBB17_25:                              ;   in Loop: Header=BB17_26 Depth=3
	s_or_b32 exec_lo, exec_lo, s44
	s_and_b32 s44, exec_lo, s43
	s_or_b32 s40, s44, s40
	s_andn2_b32 s41, s41, exec_lo
	s_and_b32 s44, s42, exec_lo
	s_or_b32 s41, s41, s44
	s_andn2_b32 exec_lo, exec_lo, s40
	s_cbranch_execz .LBB17_28
.LBB17_26:                              ;   Parent Loop BB17_4 Depth=1
                                        ;     Parent Loop BB17_8 Depth=2
                                        ; =>    This Inner Loop Header: Depth=3
	v_add_nc_u32_e32 v7, v9, v10
	s_or_b32 s42, s42, exec_lo
	s_or_b32 s43, s43, exec_lo
	s_mov_b32 s44, exec_lo
	v_ashrrev_i32_e32 v8, 31, v7
	v_lshlrev_b64 v[21:22], 2, v[7:8]
	v_add_co_u32 v21, vcc_lo, s12, v21
	v_add_co_ci_u32_e64 v22, null, s13, v22, vcc_lo
	global_load_dword v2, v[21:22], off
	s_waitcnt vmcnt(0)
	v_subrev_nc_u32_e32 v2, s4, v2
	v_cmpx_ne_u32_e64 v2, v1
	s_cbranch_execz .LBB17_25
; %bb.27:                               ;   in Loop: Header=BB17_26 Depth=3
	v_add_nc_u32_e32 v10, 1, v10
	s_andn2_b32 s43, s43, exec_lo
	s_andn2_b32 s42, s42, exec_lo
	v_cmp_ge_i32_e32 vcc_lo, v10, v20
	s_and_b32 s45, vcc_lo, exec_lo
	s_or_b32 s43, s43, s45
	s_branch .LBB17_25
.LBB17_28:                              ;   in Loop: Header=BB17_8 Depth=2
	s_inst_prefetch 0x2
	s_or_b32 exec_lo, exec_lo, s40
	s_and_saveexec_b32 s40, s41
	s_xor_b32 s40, exec_lo, s40
	s_cbranch_execz .LBB17_30
; %bb.29:                               ;   in Loop: Header=BB17_8 Depth=2
	v_lshlrev_b64 v[7:8], 3, v[7:8]
	v_add_co_u32 v7, vcc_lo, s14, v7
	v_add_co_ci_u32_e64 v8, null, s15, v8, vcc_lo
	global_store_dwordx2 v[7:8], v[11:12], off
.LBB17_30:                              ;   in Loop: Header=BB17_8 Depth=2
	s_or_b32 exec_lo, exec_lo, s39
.LBB17_31:                              ;   in Loop: Header=BB17_8 Depth=2
	s_or_b32 exec_lo, exec_lo, s38
                                        ; implicit-def: $vgpr11_vgpr12
                                        ; implicit-def: $vgpr7_vgpr8
.LBB17_32:                              ;   in Loop: Header=BB17_8 Depth=2
	s_andn2_saveexec_b32 s1, s1
	s_cbranch_execz .LBB17_7
; %bb.33:                               ;   in Loop: Header=BB17_8 Depth=2
	v_cmp_lt_i32_e32 vcc_lo, v2, v15
	s_and_b32 exec_lo, exec_lo, vcc_lo
	s_cbranch_execz .LBB17_7
; %bb.34:                               ;   in Loop: Header=BB17_8 Depth=2
	s_mov_b32 s1, 0
                                        ; implicit-def: $sgpr38
                                        ; implicit-def: $sgpr40
                                        ; implicit-def: $sgpr39
	s_inst_prefetch 0x1
	s_branch .LBB17_36
	.p2align	6
.LBB17_35:                              ;   in Loop: Header=BB17_36 Depth=3
	s_or_b32 exec_lo, exec_lo, s41
	s_and_b32 s41, exec_lo, s40
	s_or_b32 s1, s41, s1
	s_andn2_b32 s38, s38, exec_lo
	s_and_b32 s41, s39, exec_lo
	s_or_b32 s38, s38, s41
	s_andn2_b32 exec_lo, exec_lo, s1
	s_cbranch_execz .LBB17_38
.LBB17_36:                              ;   Parent Loop BB17_4 Depth=1
                                        ;     Parent Loop BB17_8 Depth=2
                                        ; =>    This Inner Loop Header: Depth=3
	v_add_nc_u32_e32 v8, v6, v2
	s_or_b32 s39, s39, exec_lo
	s_or_b32 s40, s40, exec_lo
	s_mov_b32 s41, exec_lo
	v_ashrrev_i32_e32 v9, 31, v8
	v_lshlrev_b64 v[20:21], 2, v[8:9]
	v_add_co_u32 v20, vcc_lo, s20, v20
	v_add_co_ci_u32_e64 v21, null, s21, v21, vcc_lo
	global_load_dword v5, v[20:21], off
	s_waitcnt vmcnt(0)
	v_subrev_nc_u32_e32 v5, s34, v5
	v_cmpx_ne_u32_e64 v5, v7
	s_cbranch_execz .LBB17_35
; %bb.37:                               ;   in Loop: Header=BB17_36 Depth=3
	v_add_nc_u32_e32 v2, 1, v2
	s_andn2_b32 s40, s40, exec_lo
	s_andn2_b32 s39, s39, exec_lo
	v_cmp_ge_i32_e32 vcc_lo, v2, v15
	s_and_b32 s42, vcc_lo, exec_lo
	s_or_b32 s40, s40, s42
	s_branch .LBB17_35
.LBB17_38:                              ;   in Loop: Header=BB17_8 Depth=2
	s_inst_prefetch 0x2
	s_or_b32 exec_lo, exec_lo, s1
	s_and_saveexec_b32 s1, s38
	s_xor_b32 s1, exec_lo, s1
	s_cbranch_execz .LBB17_7
; %bb.39:                               ;   in Loop: Header=BB17_8 Depth=2
	v_lshlrev_b64 v[7:8], 3, v[8:9]
	v_add_co_u32 v7, vcc_lo, s22, v7
	v_add_co_ci_u32_e64 v8, null, s23, v8, vcc_lo
	global_store_dwordx2 v[7:8], v[11:12], off
	s_branch .LBB17_7
.LBB17_40:
	s_endpgm
	.section	.rodata,"a",@progbits
	.p2align	6, 0x0
	.amdhsa_kernel _ZN9rocsparseL25kernel_correction_no_normILi1024ELi8EdiiEEvT3_T2_PKS2_S4_PKS1_PKT1_21rocsparse_index_base_S4_S4_S6_PS7_SA_S4_S4_S6_SB_SA_SB_
		.amdhsa_group_segment_fixed_size 0
		.amdhsa_private_segment_fixed_size 0
		.amdhsa_kernarg_size 136
		.amdhsa_user_sgpr_count 6
		.amdhsa_user_sgpr_private_segment_buffer 1
		.amdhsa_user_sgpr_dispatch_ptr 0
		.amdhsa_user_sgpr_queue_ptr 0
		.amdhsa_user_sgpr_kernarg_segment_ptr 1
		.amdhsa_user_sgpr_dispatch_id 0
		.amdhsa_user_sgpr_flat_scratch_init 0
		.amdhsa_user_sgpr_private_segment_size 0
		.amdhsa_wavefront_size32 1
		.amdhsa_uses_dynamic_stack 0
		.amdhsa_system_sgpr_private_segment_wavefront_offset 0
		.amdhsa_system_sgpr_workgroup_id_x 1
		.amdhsa_system_sgpr_workgroup_id_y 0
		.amdhsa_system_sgpr_workgroup_id_z 0
		.amdhsa_system_sgpr_workgroup_info 0
		.amdhsa_system_vgpr_workitem_id 0
		.amdhsa_next_free_vgpr 31
		.amdhsa_next_free_sgpr 46
		.amdhsa_reserve_vcc 1
		.amdhsa_reserve_flat_scratch 0
		.amdhsa_float_round_mode_32 0
		.amdhsa_float_round_mode_16_64 0
		.amdhsa_float_denorm_mode_32 3
		.amdhsa_float_denorm_mode_16_64 3
		.amdhsa_dx10_clamp 1
		.amdhsa_ieee_mode 1
		.amdhsa_fp16_overflow 0
		.amdhsa_workgroup_processor_mode 1
		.amdhsa_memory_ordered 1
		.amdhsa_forward_progress 1
		.amdhsa_shared_vgpr_count 0
		.amdhsa_exception_fp_ieee_invalid_op 0
		.amdhsa_exception_fp_denorm_src 0
		.amdhsa_exception_fp_ieee_div_zero 0
		.amdhsa_exception_fp_ieee_overflow 0
		.amdhsa_exception_fp_ieee_underflow 0
		.amdhsa_exception_fp_ieee_inexact 0
		.amdhsa_exception_int_div_zero 0
	.end_amdhsa_kernel
	.section	.text._ZN9rocsparseL25kernel_correction_no_normILi1024ELi8EdiiEEvT3_T2_PKS2_S4_PKS1_PKT1_21rocsparse_index_base_S4_S4_S6_PS7_SA_S4_S4_S6_SB_SA_SB_,"axG",@progbits,_ZN9rocsparseL25kernel_correction_no_normILi1024ELi8EdiiEEvT3_T2_PKS2_S4_PKS1_PKT1_21rocsparse_index_base_S4_S4_S6_PS7_SA_S4_S4_S6_SB_SA_SB_,comdat
.Lfunc_end17:
	.size	_ZN9rocsparseL25kernel_correction_no_normILi1024ELi8EdiiEEvT3_T2_PKS2_S4_PKS1_PKT1_21rocsparse_index_base_S4_S4_S6_PS7_SA_S4_S4_S6_SB_SA_SB_, .Lfunc_end17-_ZN9rocsparseL25kernel_correction_no_normILi1024ELi8EdiiEEvT3_T2_PKS2_S4_PKS1_PKT1_21rocsparse_index_base_S4_S4_S6_PS7_SA_S4_S4_S6_SB_SA_SB_
                                        ; -- End function
	.set _ZN9rocsparseL25kernel_correction_no_normILi1024ELi8EdiiEEvT3_T2_PKS2_S4_PKS1_PKT1_21rocsparse_index_base_S4_S4_S6_PS7_SA_S4_S4_S6_SB_SA_SB_.num_vgpr, 31
	.set _ZN9rocsparseL25kernel_correction_no_normILi1024ELi8EdiiEEvT3_T2_PKS2_S4_PKS1_PKT1_21rocsparse_index_base_S4_S4_S6_PS7_SA_S4_S4_S6_SB_SA_SB_.num_agpr, 0
	.set _ZN9rocsparseL25kernel_correction_no_normILi1024ELi8EdiiEEvT3_T2_PKS2_S4_PKS1_PKT1_21rocsparse_index_base_S4_S4_S6_PS7_SA_S4_S4_S6_SB_SA_SB_.numbered_sgpr, 46
	.set _ZN9rocsparseL25kernel_correction_no_normILi1024ELi8EdiiEEvT3_T2_PKS2_S4_PKS1_PKT1_21rocsparse_index_base_S4_S4_S6_PS7_SA_S4_S4_S6_SB_SA_SB_.num_named_barrier, 0
	.set _ZN9rocsparseL25kernel_correction_no_normILi1024ELi8EdiiEEvT3_T2_PKS2_S4_PKS1_PKT1_21rocsparse_index_base_S4_S4_S6_PS7_SA_S4_S4_S6_SB_SA_SB_.private_seg_size, 0
	.set _ZN9rocsparseL25kernel_correction_no_normILi1024ELi8EdiiEEvT3_T2_PKS2_S4_PKS1_PKT1_21rocsparse_index_base_S4_S4_S6_PS7_SA_S4_S4_S6_SB_SA_SB_.uses_vcc, 1
	.set _ZN9rocsparseL25kernel_correction_no_normILi1024ELi8EdiiEEvT3_T2_PKS2_S4_PKS1_PKT1_21rocsparse_index_base_S4_S4_S6_PS7_SA_S4_S4_S6_SB_SA_SB_.uses_flat_scratch, 0
	.set _ZN9rocsparseL25kernel_correction_no_normILi1024ELi8EdiiEEvT3_T2_PKS2_S4_PKS1_PKT1_21rocsparse_index_base_S4_S4_S6_PS7_SA_S4_S4_S6_SB_SA_SB_.has_dyn_sized_stack, 0
	.set _ZN9rocsparseL25kernel_correction_no_normILi1024ELi8EdiiEEvT3_T2_PKS2_S4_PKS1_PKT1_21rocsparse_index_base_S4_S4_S6_PS7_SA_S4_S4_S6_SB_SA_SB_.has_recursion, 0
	.set _ZN9rocsparseL25kernel_correction_no_normILi1024ELi8EdiiEEvT3_T2_PKS2_S4_PKS1_PKT1_21rocsparse_index_base_S4_S4_S6_PS7_SA_S4_S4_S6_SB_SA_SB_.has_indirect_call, 0
	.section	.AMDGPU.csdata,"",@progbits
; Kernel info:
; codeLenInByte = 1728
; TotalNumSgprs: 48
; NumVgprs: 31
; ScratchSize: 0
; MemoryBound: 1
; FloatMode: 240
; IeeeMode: 1
; LDSByteSize: 0 bytes/workgroup (compile time only)
; SGPRBlocks: 0
; VGPRBlocks: 3
; NumSGPRsForWavesPerEU: 48
; NumVGPRsForWavesPerEU: 31
; Occupancy: 16
; WaveLimiterHint : 1
; COMPUTE_PGM_RSRC2:SCRATCH_EN: 0
; COMPUTE_PGM_RSRC2:USER_SGPR: 6
; COMPUTE_PGM_RSRC2:TRAP_HANDLER: 0
; COMPUTE_PGM_RSRC2:TGID_X_EN: 1
; COMPUTE_PGM_RSRC2:TGID_Y_EN: 0
; COMPUTE_PGM_RSRC2:TGID_Z_EN: 0
; COMPUTE_PGM_RSRC2:TIDIG_COMP_CNT: 0
	.section	.text._ZN9rocsparseL25kernel_correction_no_normILi1024ELi16EdiiEEvT3_T2_PKS2_S4_PKS1_PKT1_21rocsparse_index_base_S4_S4_S6_PS7_SA_S4_S4_S6_SB_SA_SB_,"axG",@progbits,_ZN9rocsparseL25kernel_correction_no_normILi1024ELi16EdiiEEvT3_T2_PKS2_S4_PKS1_PKT1_21rocsparse_index_base_S4_S4_S6_PS7_SA_S4_S4_S6_SB_SA_SB_,comdat
	.globl	_ZN9rocsparseL25kernel_correction_no_normILi1024ELi16EdiiEEvT3_T2_PKS2_S4_PKS1_PKT1_21rocsparse_index_base_S4_S4_S6_PS7_SA_S4_S4_S6_SB_SA_SB_ ; -- Begin function _ZN9rocsparseL25kernel_correction_no_normILi1024ELi16EdiiEEvT3_T2_PKS2_S4_PKS1_PKT1_21rocsparse_index_base_S4_S4_S6_PS7_SA_S4_S4_S6_SB_SA_SB_
	.p2align	8
	.type	_ZN9rocsparseL25kernel_correction_no_normILi1024ELi16EdiiEEvT3_T2_PKS2_S4_PKS1_PKT1_21rocsparse_index_base_S4_S4_S6_PS7_SA_S4_S4_S6_SB_SA_SB_,@function
_ZN9rocsparseL25kernel_correction_no_normILi1024ELi16EdiiEEvT3_T2_PKS2_S4_PKS1_PKT1_21rocsparse_index_base_S4_S4_S6_PS7_SA_S4_S4_S6_SB_SA_SB_: ; @_ZN9rocsparseL25kernel_correction_no_normILi1024ELi16EdiiEEvT3_T2_PKS2_S4_PKS1_PKT1_21rocsparse_index_base_S4_S4_S6_PS7_SA_S4_S4_S6_SB_SA_SB_
; %bb.0:
	s_load_dword s7, s[4:5], 0x0
	v_lshrrev_b32_e32 v1, 4, v0
	s_lshl_b32 s6, s6, 10
	s_mov_b32 s0, exec_lo
	v_or_b32_e32 v1, s6, v1
	s_waitcnt lgkmcnt(0)
	v_cmpx_gt_i32_e64 s7, v1
	s_cbranch_execz .LBB18_40
; %bb.1:
	s_addk_i32 s6, 0x400
	v_cmp_gt_u32_e32 vcc_lo, s6, v1
	s_and_b32 exec_lo, exec_lo, vcc_lo
	s_cbranch_execz .LBB18_40
; %bb.2:
	s_clause 0x6
	s_load_dword s33, s[4:5], 0x28
	s_load_dwordx8 s[8:15], s[4:5], 0x58
	s_load_dwordx8 s[16:23], s[4:5], 0x30
	;; [unrolled: 1-line block ×3, first 2 shown]
	s_load_dword s34, s[4:5], 0x50
	s_load_dwordx2 s[2:3], s[4:5], 0x80
	s_load_dword s4, s[4:5], 0x78
	v_and_b32_e32 v0, 15, v0
	v_mov_b32_e32 v3, 0
	s_mov_b32 s5, 0
	s_waitcnt lgkmcnt(0)
	v_subrev_nc_u32_e32 v0, s33, v0
	s_branch .LBB18_4
.LBB18_3:                               ;   in Loop: Header=BB18_4 Depth=1
	s_or_b32 exec_lo, exec_lo, s35
	v_add_nc_u32_e32 v1, 64, v1
	v_cmp_le_u32_e32 vcc_lo, s6, v1
	s_or_b32 s5, vcc_lo, s5
	s_andn2_b32 exec_lo, exec_lo, s5
	s_cbranch_execz .LBB18_40
.LBB18_4:                               ; =>This Loop Header: Depth=1
                                        ;     Child Loop BB18_8 Depth 2
                                        ;       Child Loop BB18_12 Depth 3
                                        ;       Child Loop BB18_26 Depth 3
	;; [unrolled: 1-line block ×3, first 2 shown]
	s_mov_b32 s35, exec_lo
	v_cmpx_gt_i32_e64 s7, v1
	s_cbranch_execz .LBB18_3
; %bb.5:                                ;   in Loop: Header=BB18_4 Depth=1
	v_ashrrev_i32_e32 v2, 31, v1
	v_lshlrev_b64 v[5:6], 2, v[1:2]
	v_add_co_u32 v7, vcc_lo, s24, v5
	v_add_co_ci_u32_e64 v8, null, s25, v6, vcc_lo
	v_add_co_u32 v9, vcc_lo, s26, v5
	v_add_co_ci_u32_e64 v10, null, s27, v6, vcc_lo
	global_load_dword v2, v[7:8], off
	global_load_dword v7, v[9:10], off
	s_waitcnt vmcnt(1)
	v_add_nc_u32_e32 v4, v0, v2
	s_waitcnt vmcnt(0)
	v_subrev_nc_u32_e32 v14, s33, v7
	v_cmp_lt_i32_e32 vcc_lo, v4, v14
	s_and_b32 exec_lo, exec_lo, vcc_lo
	s_cbranch_execz .LBB18_3
; %bb.6:                                ;   in Loop: Header=BB18_4 Depth=1
	v_add_co_u32 v7, vcc_lo, s16, v5
	v_add_co_ci_u32_e64 v8, null, s17, v6, vcc_lo
	v_add_co_u32 v5, vcc_lo, s18, v5
	v_add_co_ci_u32_e64 v6, null, s19, v6, vcc_lo
	global_load_dword v2, v[7:8], off
	s_mov_b32 s36, 0
	global_load_dword v5, v[5:6], off
	s_waitcnt vmcnt(1)
	v_subrev_nc_u32_e32 v6, s34, v2
	s_waitcnt vmcnt(0)
	v_sub_nc_u32_e32 v15, v5, v2
	v_ashrrev_i32_e32 v7, 31, v6
	v_cmp_lt_i32_e64 s0, 0, v15
	v_lshlrev_b64 v[8:9], 2, v[6:7]
	v_lshlrev_b64 v[10:11], 3, v[6:7]
	v_add_co_u32 v16, vcc_lo, s20, v8
	v_add_co_ci_u32_e64 v17, null, s21, v9, vcc_lo
	v_add_co_u32 v18, vcc_lo, s22, v10
	v_add_co_ci_u32_e64 v19, null, s23, v11, vcc_lo
	s_branch .LBB18_8
.LBB18_7:                               ;   in Loop: Header=BB18_8 Depth=2
	s_or_b32 exec_lo, exec_lo, s37
	v_add_nc_u32_e32 v4, 16, v4
	v_cmp_ge_i32_e32 vcc_lo, v4, v14
	s_or_b32 s36, vcc_lo, s36
	s_andn2_b32 exec_lo, exec_lo, s36
	s_cbranch_execz .LBB18_3
.LBB18_8:                               ;   Parent Loop BB18_4 Depth=1
                                        ; =>  This Loop Header: Depth=2
                                        ;       Child Loop BB18_12 Depth 3
                                        ;       Child Loop BB18_26 Depth 3
	;; [unrolled: 1-line block ×3, first 2 shown]
	v_ashrrev_i32_e32 v5, 31, v4
	v_lshlrev_b64 v[7:8], 2, v[4:5]
	v_add_co_u32 v7, vcc_lo, s28, v7
	v_add_co_ci_u32_e64 v8, null, s29, v8, vcc_lo
	global_load_dword v2, v[7:8], off
	s_waitcnt vmcnt(0)
	v_subrev_nc_u32_e32 v7, s33, v2
	v_ashrrev_i32_e32 v8, 31, v7
	v_lshlrev_b64 v[9:10], 2, v[7:8]
	v_add_co_u32 v11, vcc_lo, s8, v9
	v_add_co_ci_u32_e64 v12, null, s9, v10, vcc_lo
	v_add_co_u32 v9, vcc_lo, s10, v9
	v_add_co_ci_u32_e64 v10, null, s11, v10, vcc_lo
	global_load_dword v2, v[11:12], off
	global_load_dword v11, v[9:10], off
	v_mov_b32_e32 v10, 0
	v_mov_b32_e32 v12, 0
	;; [unrolled: 1-line block ×3, first 2 shown]
	s_waitcnt vmcnt(1)
	v_subrev_nc_u32_e32 v9, s4, v2
	s_waitcnt vmcnt(0)
	v_sub_nc_u32_e32 v20, v11, v2
	v_mov_b32_e32 v2, v10
	s_and_saveexec_b32 s37, s0
	s_cbranch_execz .LBB18_16
; %bb.9:                                ;   in Loop: Header=BB18_8 Depth=2
	v_ashrrev_i32_e32 v10, 31, v9
	v_mov_b32_e32 v12, 0
	v_mov_b32_e32 v13, 0
	;; [unrolled: 1-line block ×3, first 2 shown]
	s_mov_b32 s38, 0
	v_lshlrev_b64 v[21:22], 2, v[9:10]
	v_lshlrev_b64 v[10:11], 3, v[9:10]
                                        ; implicit-def: $sgpr39
	v_add_co_u32 v21, vcc_lo, s12, v21
	v_add_co_ci_u32_e64 v22, null, s13, v22, vcc_lo
	v_add_co_u32 v23, vcc_lo, s14, v10
	v_add_co_ci_u32_e64 v24, null, s15, v11, vcc_lo
	v_mov_b32_e32 v10, 0
	s_branch .LBB18_12
.LBB18_10:                              ;   in Loop: Header=BB18_12 Depth=3
	s_or_b32 exec_lo, exec_lo, s1
	v_cmp_le_i32_e32 vcc_lo, v25, v26
	v_cmp_ge_i32_e64 s1, v25, v26
	v_add_co_ci_u32_e64 v2, null, 0, v2, vcc_lo
	v_add_co_ci_u32_e64 v10, null, 0, v10, s1
	s_andn2_b32 s1, s39, exec_lo
	v_cmp_ge_i32_e32 vcc_lo, v2, v15
	s_and_b32 s39, vcc_lo, exec_lo
	s_or_b32 s39, s1, s39
.LBB18_11:                              ;   in Loop: Header=BB18_12 Depth=3
	s_or_b32 exec_lo, exec_lo, s40
	s_and_b32 s1, exec_lo, s39
	s_or_b32 s38, s1, s38
	s_andn2_b32 exec_lo, exec_lo, s38
	s_cbranch_execz .LBB18_15
.LBB18_12:                              ;   Parent Loop BB18_4 Depth=1
                                        ;     Parent Loop BB18_8 Depth=2
                                        ; =>    This Inner Loop Header: Depth=3
	s_or_b32 s39, s39, exec_lo
	s_mov_b32 s40, exec_lo
	v_cmpx_lt_i32_e64 v10, v20
	s_cbranch_execz .LBB18_11
; %bb.13:                               ;   in Loop: Header=BB18_12 Depth=3
	v_mov_b32_e32 v11, v3
	v_lshlrev_b64 v[25:26], 2, v[2:3]
	s_mov_b32 s1, exec_lo
	v_lshlrev_b64 v[27:28], 2, v[10:11]
	v_add_co_u32 v25, vcc_lo, v16, v25
	v_add_co_ci_u32_e64 v26, null, v17, v26, vcc_lo
	v_add_co_u32 v27, vcc_lo, v21, v27
	v_add_co_ci_u32_e64 v28, null, v22, v28, vcc_lo
	global_load_dword v25, v[25:26], off
	global_load_dword v26, v[27:28], off
	s_waitcnt vmcnt(1)
	v_subrev_nc_u32_e32 v25, s34, v25
	s_waitcnt vmcnt(0)
	v_subrev_nc_u32_e32 v26, s4, v26
	v_cmpx_eq_u32_e64 v25, v26
	s_cbranch_execz .LBB18_10
; %bb.14:                               ;   in Loop: Header=BB18_12 Depth=3
	v_lshlrev_b64 v[27:28], 3, v[2:3]
	v_lshlrev_b64 v[29:30], 3, v[10:11]
	v_add_co_u32 v27, vcc_lo, v18, v27
	v_add_co_ci_u32_e64 v28, null, v19, v28, vcc_lo
	v_add_co_u32 v29, vcc_lo, v23, v29
	v_add_co_ci_u32_e64 v30, null, v24, v30, vcc_lo
	global_load_dwordx2 v[27:28], v[27:28], off
	global_load_dwordx2 v[29:30], v[29:30], off
	s_waitcnt vmcnt(0)
	v_fma_f64 v[12:13], v[27:28], v[29:30], v[12:13]
	s_branch .LBB18_10
.LBB18_15:                              ;   in Loop: Header=BB18_8 Depth=2
	s_or_b32 exec_lo, exec_lo, s38
.LBB18_16:                              ;   in Loop: Header=BB18_8 Depth=2
	s_or_b32 exec_lo, exec_lo, s37
	v_lshlrev_b64 v[21:22], 3, v[4:5]
	v_cmp_le_i32_e64 s1, v1, v7
	s_mov_b32 s37, exec_lo
	v_add_co_u32 v21, vcc_lo, s30, v21
	v_add_co_ci_u32_e64 v22, null, s31, v22, vcc_lo
	global_load_dwordx2 v[21:22], v[21:22], off
	s_waitcnt vmcnt(0)
	v_add_f64 v[11:12], v[21:22], -v[12:13]
	v_cmpx_gt_i32_e64 v1, v7
	s_cbranch_execz .LBB18_18
; %bb.17:                               ;   in Loop: Header=BB18_8 Depth=2
	v_lshlrev_b64 v[21:22], 3, v[7:8]
	v_add_co_u32 v21, vcc_lo, s2, v21
	v_add_co_ci_u32_e64 v22, null, s3, v22, vcc_lo
	global_load_dwordx2 v[21:22], v[21:22], off
	s_waitcnt vmcnt(0)
	v_div_scale_f64 v[23:24], null, v[21:22], v[21:22], v[11:12]
	v_rcp_f64_e32 v[25:26], v[23:24]
	v_fma_f64 v[27:28], -v[23:24], v[25:26], 1.0
	v_fma_f64 v[25:26], v[25:26], v[27:28], v[25:26]
	v_fma_f64 v[27:28], -v[23:24], v[25:26], 1.0
	v_fma_f64 v[25:26], v[25:26], v[27:28], v[25:26]
	v_div_scale_f64 v[27:28], vcc_lo, v[11:12], v[21:22], v[11:12]
	v_mul_f64 v[29:30], v[27:28], v[25:26]
	v_fma_f64 v[23:24], -v[23:24], v[29:30], v[27:28]
	v_div_fmas_f64 v[23:24], v[23:24], v[25:26], v[29:30]
	v_div_fixup_f64 v[11:12], v[23:24], v[21:22], v[11:12]
.LBB18_18:                              ;   in Loop: Header=BB18_8 Depth=2
	s_or_b32 exec_lo, exec_lo, s37
	v_cmp_class_f64_e64 s38, v[11:12], 0x1f8
	s_and_saveexec_b32 s37, s38
	s_cbranch_execz .LBB18_7
; %bb.19:                               ;   in Loop: Header=BB18_8 Depth=2
	s_and_saveexec_b32 s38, s1
	s_xor_b32 s1, exec_lo, s38
	s_cbranch_execz .LBB18_32
; %bb.20:                               ;   in Loop: Header=BB18_8 Depth=2
	s_mov_b32 s38, exec_lo
	v_cmpx_ge_i32_e64 v1, v7
	s_xor_b32 s38, exec_lo, s38
	s_cbranch_execz .LBB18_22
; %bb.21:                               ;   in Loop: Header=BB18_8 Depth=2
	v_lshlrev_b64 v[7:8], 3, v[7:8]
                                        ; implicit-def: $vgpr10
                                        ; implicit-def: $vgpr20
                                        ; implicit-def: $vgpr9
	v_add_co_u32 v7, vcc_lo, s2, v7
	v_add_co_ci_u32_e64 v8, null, s3, v8, vcc_lo
	global_store_dwordx2 v[7:8], v[11:12], off
                                        ; implicit-def: $vgpr11_vgpr12
.LBB18_22:                              ;   in Loop: Header=BB18_8 Depth=2
	s_andn2_saveexec_b32 s38, s38
	s_cbranch_execz .LBB18_31
; %bb.23:                               ;   in Loop: Header=BB18_8 Depth=2
	s_mov_b32 s39, exec_lo
	v_cmpx_lt_i32_e64 v10, v20
	s_cbranch_execz .LBB18_30
; %bb.24:                               ;   in Loop: Header=BB18_8 Depth=2
	s_mov_b32 s40, 0
                                        ; implicit-def: $sgpr41
                                        ; implicit-def: $sgpr43
                                        ; implicit-def: $sgpr42
	s_inst_prefetch 0x1
	s_branch .LBB18_26
	.p2align	6
.LBB18_25:                              ;   in Loop: Header=BB18_26 Depth=3
	s_or_b32 exec_lo, exec_lo, s44
	s_and_b32 s44, exec_lo, s43
	s_or_b32 s40, s44, s40
	s_andn2_b32 s41, s41, exec_lo
	s_and_b32 s44, s42, exec_lo
	s_or_b32 s41, s41, s44
	s_andn2_b32 exec_lo, exec_lo, s40
	s_cbranch_execz .LBB18_28
.LBB18_26:                              ;   Parent Loop BB18_4 Depth=1
                                        ;     Parent Loop BB18_8 Depth=2
                                        ; =>    This Inner Loop Header: Depth=3
	v_add_nc_u32_e32 v7, v9, v10
	s_or_b32 s42, s42, exec_lo
	s_or_b32 s43, s43, exec_lo
	s_mov_b32 s44, exec_lo
	v_ashrrev_i32_e32 v8, 31, v7
	v_lshlrev_b64 v[21:22], 2, v[7:8]
	v_add_co_u32 v21, vcc_lo, s12, v21
	v_add_co_ci_u32_e64 v22, null, s13, v22, vcc_lo
	global_load_dword v2, v[21:22], off
	s_waitcnt vmcnt(0)
	v_subrev_nc_u32_e32 v2, s4, v2
	v_cmpx_ne_u32_e64 v2, v1
	s_cbranch_execz .LBB18_25
; %bb.27:                               ;   in Loop: Header=BB18_26 Depth=3
	v_add_nc_u32_e32 v10, 1, v10
	s_andn2_b32 s43, s43, exec_lo
	s_andn2_b32 s42, s42, exec_lo
	v_cmp_ge_i32_e32 vcc_lo, v10, v20
	s_and_b32 s45, vcc_lo, exec_lo
	s_or_b32 s43, s43, s45
	s_branch .LBB18_25
.LBB18_28:                              ;   in Loop: Header=BB18_8 Depth=2
	s_inst_prefetch 0x2
	s_or_b32 exec_lo, exec_lo, s40
	s_and_saveexec_b32 s40, s41
	s_xor_b32 s40, exec_lo, s40
	s_cbranch_execz .LBB18_30
; %bb.29:                               ;   in Loop: Header=BB18_8 Depth=2
	v_lshlrev_b64 v[7:8], 3, v[7:8]
	v_add_co_u32 v7, vcc_lo, s14, v7
	v_add_co_ci_u32_e64 v8, null, s15, v8, vcc_lo
	global_store_dwordx2 v[7:8], v[11:12], off
.LBB18_30:                              ;   in Loop: Header=BB18_8 Depth=2
	s_or_b32 exec_lo, exec_lo, s39
.LBB18_31:                              ;   in Loop: Header=BB18_8 Depth=2
	s_or_b32 exec_lo, exec_lo, s38
                                        ; implicit-def: $vgpr11_vgpr12
                                        ; implicit-def: $vgpr7_vgpr8
.LBB18_32:                              ;   in Loop: Header=BB18_8 Depth=2
	s_andn2_saveexec_b32 s1, s1
	s_cbranch_execz .LBB18_7
; %bb.33:                               ;   in Loop: Header=BB18_8 Depth=2
	v_cmp_lt_i32_e32 vcc_lo, v2, v15
	s_and_b32 exec_lo, exec_lo, vcc_lo
	s_cbranch_execz .LBB18_7
; %bb.34:                               ;   in Loop: Header=BB18_8 Depth=2
	s_mov_b32 s1, 0
                                        ; implicit-def: $sgpr38
                                        ; implicit-def: $sgpr40
                                        ; implicit-def: $sgpr39
	s_inst_prefetch 0x1
	s_branch .LBB18_36
	.p2align	6
.LBB18_35:                              ;   in Loop: Header=BB18_36 Depth=3
	s_or_b32 exec_lo, exec_lo, s41
	s_and_b32 s41, exec_lo, s40
	s_or_b32 s1, s41, s1
	s_andn2_b32 s38, s38, exec_lo
	s_and_b32 s41, s39, exec_lo
	s_or_b32 s38, s38, s41
	s_andn2_b32 exec_lo, exec_lo, s1
	s_cbranch_execz .LBB18_38
.LBB18_36:                              ;   Parent Loop BB18_4 Depth=1
                                        ;     Parent Loop BB18_8 Depth=2
                                        ; =>    This Inner Loop Header: Depth=3
	v_add_nc_u32_e32 v8, v6, v2
	s_or_b32 s39, s39, exec_lo
	s_or_b32 s40, s40, exec_lo
	s_mov_b32 s41, exec_lo
	v_ashrrev_i32_e32 v9, 31, v8
	v_lshlrev_b64 v[20:21], 2, v[8:9]
	v_add_co_u32 v20, vcc_lo, s20, v20
	v_add_co_ci_u32_e64 v21, null, s21, v21, vcc_lo
	global_load_dword v5, v[20:21], off
	s_waitcnt vmcnt(0)
	v_subrev_nc_u32_e32 v5, s34, v5
	v_cmpx_ne_u32_e64 v5, v7
	s_cbranch_execz .LBB18_35
; %bb.37:                               ;   in Loop: Header=BB18_36 Depth=3
	v_add_nc_u32_e32 v2, 1, v2
	s_andn2_b32 s40, s40, exec_lo
	s_andn2_b32 s39, s39, exec_lo
	v_cmp_ge_i32_e32 vcc_lo, v2, v15
	s_and_b32 s42, vcc_lo, exec_lo
	s_or_b32 s40, s40, s42
	s_branch .LBB18_35
.LBB18_38:                              ;   in Loop: Header=BB18_8 Depth=2
	s_inst_prefetch 0x2
	s_or_b32 exec_lo, exec_lo, s1
	s_and_saveexec_b32 s1, s38
	s_xor_b32 s1, exec_lo, s1
	s_cbranch_execz .LBB18_7
; %bb.39:                               ;   in Loop: Header=BB18_8 Depth=2
	v_lshlrev_b64 v[7:8], 3, v[8:9]
	v_add_co_u32 v7, vcc_lo, s22, v7
	v_add_co_ci_u32_e64 v8, null, s23, v8, vcc_lo
	global_store_dwordx2 v[7:8], v[11:12], off
	s_branch .LBB18_7
.LBB18_40:
	s_endpgm
	.section	.rodata,"a",@progbits
	.p2align	6, 0x0
	.amdhsa_kernel _ZN9rocsparseL25kernel_correction_no_normILi1024ELi16EdiiEEvT3_T2_PKS2_S4_PKS1_PKT1_21rocsparse_index_base_S4_S4_S6_PS7_SA_S4_S4_S6_SB_SA_SB_
		.amdhsa_group_segment_fixed_size 0
		.amdhsa_private_segment_fixed_size 0
		.amdhsa_kernarg_size 136
		.amdhsa_user_sgpr_count 6
		.amdhsa_user_sgpr_private_segment_buffer 1
		.amdhsa_user_sgpr_dispatch_ptr 0
		.amdhsa_user_sgpr_queue_ptr 0
		.amdhsa_user_sgpr_kernarg_segment_ptr 1
		.amdhsa_user_sgpr_dispatch_id 0
		.amdhsa_user_sgpr_flat_scratch_init 0
		.amdhsa_user_sgpr_private_segment_size 0
		.amdhsa_wavefront_size32 1
		.amdhsa_uses_dynamic_stack 0
		.amdhsa_system_sgpr_private_segment_wavefront_offset 0
		.amdhsa_system_sgpr_workgroup_id_x 1
		.amdhsa_system_sgpr_workgroup_id_y 0
		.amdhsa_system_sgpr_workgroup_id_z 0
		.amdhsa_system_sgpr_workgroup_info 0
		.amdhsa_system_vgpr_workitem_id 0
		.amdhsa_next_free_vgpr 31
		.amdhsa_next_free_sgpr 46
		.amdhsa_reserve_vcc 1
		.amdhsa_reserve_flat_scratch 0
		.amdhsa_float_round_mode_32 0
		.amdhsa_float_round_mode_16_64 0
		.amdhsa_float_denorm_mode_32 3
		.amdhsa_float_denorm_mode_16_64 3
		.amdhsa_dx10_clamp 1
		.amdhsa_ieee_mode 1
		.amdhsa_fp16_overflow 0
		.amdhsa_workgroup_processor_mode 1
		.amdhsa_memory_ordered 1
		.amdhsa_forward_progress 1
		.amdhsa_shared_vgpr_count 0
		.amdhsa_exception_fp_ieee_invalid_op 0
		.amdhsa_exception_fp_denorm_src 0
		.amdhsa_exception_fp_ieee_div_zero 0
		.amdhsa_exception_fp_ieee_overflow 0
		.amdhsa_exception_fp_ieee_underflow 0
		.amdhsa_exception_fp_ieee_inexact 0
		.amdhsa_exception_int_div_zero 0
	.end_amdhsa_kernel
	.section	.text._ZN9rocsparseL25kernel_correction_no_normILi1024ELi16EdiiEEvT3_T2_PKS2_S4_PKS1_PKT1_21rocsparse_index_base_S4_S4_S6_PS7_SA_S4_S4_S6_SB_SA_SB_,"axG",@progbits,_ZN9rocsparseL25kernel_correction_no_normILi1024ELi16EdiiEEvT3_T2_PKS2_S4_PKS1_PKT1_21rocsparse_index_base_S4_S4_S6_PS7_SA_S4_S4_S6_SB_SA_SB_,comdat
.Lfunc_end18:
	.size	_ZN9rocsparseL25kernel_correction_no_normILi1024ELi16EdiiEEvT3_T2_PKS2_S4_PKS1_PKT1_21rocsparse_index_base_S4_S4_S6_PS7_SA_S4_S4_S6_SB_SA_SB_, .Lfunc_end18-_ZN9rocsparseL25kernel_correction_no_normILi1024ELi16EdiiEEvT3_T2_PKS2_S4_PKS1_PKT1_21rocsparse_index_base_S4_S4_S6_PS7_SA_S4_S4_S6_SB_SA_SB_
                                        ; -- End function
	.set _ZN9rocsparseL25kernel_correction_no_normILi1024ELi16EdiiEEvT3_T2_PKS2_S4_PKS1_PKT1_21rocsparse_index_base_S4_S4_S6_PS7_SA_S4_S4_S6_SB_SA_SB_.num_vgpr, 31
	.set _ZN9rocsparseL25kernel_correction_no_normILi1024ELi16EdiiEEvT3_T2_PKS2_S4_PKS1_PKT1_21rocsparse_index_base_S4_S4_S6_PS7_SA_S4_S4_S6_SB_SA_SB_.num_agpr, 0
	.set _ZN9rocsparseL25kernel_correction_no_normILi1024ELi16EdiiEEvT3_T2_PKS2_S4_PKS1_PKT1_21rocsparse_index_base_S4_S4_S6_PS7_SA_S4_S4_S6_SB_SA_SB_.numbered_sgpr, 46
	.set _ZN9rocsparseL25kernel_correction_no_normILi1024ELi16EdiiEEvT3_T2_PKS2_S4_PKS1_PKT1_21rocsparse_index_base_S4_S4_S6_PS7_SA_S4_S4_S6_SB_SA_SB_.num_named_barrier, 0
	.set _ZN9rocsparseL25kernel_correction_no_normILi1024ELi16EdiiEEvT3_T2_PKS2_S4_PKS1_PKT1_21rocsparse_index_base_S4_S4_S6_PS7_SA_S4_S4_S6_SB_SA_SB_.private_seg_size, 0
	.set _ZN9rocsparseL25kernel_correction_no_normILi1024ELi16EdiiEEvT3_T2_PKS2_S4_PKS1_PKT1_21rocsparse_index_base_S4_S4_S6_PS7_SA_S4_S4_S6_SB_SA_SB_.uses_vcc, 1
	.set _ZN9rocsparseL25kernel_correction_no_normILi1024ELi16EdiiEEvT3_T2_PKS2_S4_PKS1_PKT1_21rocsparse_index_base_S4_S4_S6_PS7_SA_S4_S4_S6_SB_SA_SB_.uses_flat_scratch, 0
	.set _ZN9rocsparseL25kernel_correction_no_normILi1024ELi16EdiiEEvT3_T2_PKS2_S4_PKS1_PKT1_21rocsparse_index_base_S4_S4_S6_PS7_SA_S4_S4_S6_SB_SA_SB_.has_dyn_sized_stack, 0
	.set _ZN9rocsparseL25kernel_correction_no_normILi1024ELi16EdiiEEvT3_T2_PKS2_S4_PKS1_PKT1_21rocsparse_index_base_S4_S4_S6_PS7_SA_S4_S4_S6_SB_SA_SB_.has_recursion, 0
	.set _ZN9rocsparseL25kernel_correction_no_normILi1024ELi16EdiiEEvT3_T2_PKS2_S4_PKS1_PKT1_21rocsparse_index_base_S4_S4_S6_PS7_SA_S4_S4_S6_SB_SA_SB_.has_indirect_call, 0
	.section	.AMDGPU.csdata,"",@progbits
; Kernel info:
; codeLenInByte = 1728
; TotalNumSgprs: 48
; NumVgprs: 31
; ScratchSize: 0
; MemoryBound: 1
; FloatMode: 240
; IeeeMode: 1
; LDSByteSize: 0 bytes/workgroup (compile time only)
; SGPRBlocks: 0
; VGPRBlocks: 3
; NumSGPRsForWavesPerEU: 48
; NumVGPRsForWavesPerEU: 31
; Occupancy: 16
; WaveLimiterHint : 1
; COMPUTE_PGM_RSRC2:SCRATCH_EN: 0
; COMPUTE_PGM_RSRC2:USER_SGPR: 6
; COMPUTE_PGM_RSRC2:TRAP_HANDLER: 0
; COMPUTE_PGM_RSRC2:TGID_X_EN: 1
; COMPUTE_PGM_RSRC2:TGID_Y_EN: 0
; COMPUTE_PGM_RSRC2:TGID_Z_EN: 0
; COMPUTE_PGM_RSRC2:TIDIG_COMP_CNT: 0
	.section	.text._ZN9rocsparseL25kernel_correction_no_normILi1024ELi32EdiiEEvT3_T2_PKS2_S4_PKS1_PKT1_21rocsparse_index_base_S4_S4_S6_PS7_SA_S4_S4_S6_SB_SA_SB_,"axG",@progbits,_ZN9rocsparseL25kernel_correction_no_normILi1024ELi32EdiiEEvT3_T2_PKS2_S4_PKS1_PKT1_21rocsparse_index_base_S4_S4_S6_PS7_SA_S4_S4_S6_SB_SA_SB_,comdat
	.globl	_ZN9rocsparseL25kernel_correction_no_normILi1024ELi32EdiiEEvT3_T2_PKS2_S4_PKS1_PKT1_21rocsparse_index_base_S4_S4_S6_PS7_SA_S4_S4_S6_SB_SA_SB_ ; -- Begin function _ZN9rocsparseL25kernel_correction_no_normILi1024ELi32EdiiEEvT3_T2_PKS2_S4_PKS1_PKT1_21rocsparse_index_base_S4_S4_S6_PS7_SA_S4_S4_S6_SB_SA_SB_
	.p2align	8
	.type	_ZN9rocsparseL25kernel_correction_no_normILi1024ELi32EdiiEEvT3_T2_PKS2_S4_PKS1_PKT1_21rocsparse_index_base_S4_S4_S6_PS7_SA_S4_S4_S6_SB_SA_SB_,@function
_ZN9rocsparseL25kernel_correction_no_normILi1024ELi32EdiiEEvT3_T2_PKS2_S4_PKS1_PKT1_21rocsparse_index_base_S4_S4_S6_PS7_SA_S4_S4_S6_SB_SA_SB_: ; @_ZN9rocsparseL25kernel_correction_no_normILi1024ELi32EdiiEEvT3_T2_PKS2_S4_PKS1_PKT1_21rocsparse_index_base_S4_S4_S6_PS7_SA_S4_S4_S6_SB_SA_SB_
; %bb.0:
	s_load_dword s7, s[4:5], 0x0
	v_lshrrev_b32_e32 v1, 5, v0
	s_lshl_b32 s6, s6, 10
	s_mov_b32 s0, exec_lo
	v_or_b32_e32 v1, s6, v1
	s_waitcnt lgkmcnt(0)
	v_cmpx_gt_i32_e64 s7, v1
	s_cbranch_execz .LBB19_40
; %bb.1:
	s_addk_i32 s6, 0x400
	v_cmp_gt_u32_e32 vcc_lo, s6, v1
	s_and_b32 exec_lo, exec_lo, vcc_lo
	s_cbranch_execz .LBB19_40
; %bb.2:
	s_clause 0x6
	s_load_dword s33, s[4:5], 0x28
	s_load_dwordx8 s[8:15], s[4:5], 0x58
	s_load_dwordx8 s[16:23], s[4:5], 0x30
	;; [unrolled: 1-line block ×3, first 2 shown]
	s_load_dword s34, s[4:5], 0x50
	s_load_dwordx2 s[2:3], s[4:5], 0x80
	s_load_dword s4, s[4:5], 0x78
	v_and_b32_e32 v0, 31, v0
	v_mov_b32_e32 v3, 0
	s_mov_b32 s5, 0
	s_waitcnt lgkmcnt(0)
	v_subrev_nc_u32_e32 v0, s33, v0
	s_branch .LBB19_4
.LBB19_3:                               ;   in Loop: Header=BB19_4 Depth=1
	s_or_b32 exec_lo, exec_lo, s35
	v_add_nc_u32_e32 v1, 32, v1
	v_cmp_le_u32_e32 vcc_lo, s6, v1
	s_or_b32 s5, vcc_lo, s5
	s_andn2_b32 exec_lo, exec_lo, s5
	s_cbranch_execz .LBB19_40
.LBB19_4:                               ; =>This Loop Header: Depth=1
                                        ;     Child Loop BB19_8 Depth 2
                                        ;       Child Loop BB19_12 Depth 3
                                        ;       Child Loop BB19_26 Depth 3
	;; [unrolled: 1-line block ×3, first 2 shown]
	s_mov_b32 s35, exec_lo
	v_cmpx_gt_i32_e64 s7, v1
	s_cbranch_execz .LBB19_3
; %bb.5:                                ;   in Loop: Header=BB19_4 Depth=1
	v_ashrrev_i32_e32 v2, 31, v1
	v_lshlrev_b64 v[5:6], 2, v[1:2]
	v_add_co_u32 v7, vcc_lo, s24, v5
	v_add_co_ci_u32_e64 v8, null, s25, v6, vcc_lo
	v_add_co_u32 v9, vcc_lo, s26, v5
	v_add_co_ci_u32_e64 v10, null, s27, v6, vcc_lo
	global_load_dword v2, v[7:8], off
	global_load_dword v7, v[9:10], off
	s_waitcnt vmcnt(1)
	v_add_nc_u32_e32 v4, v0, v2
	s_waitcnt vmcnt(0)
	v_subrev_nc_u32_e32 v14, s33, v7
	v_cmp_lt_i32_e32 vcc_lo, v4, v14
	s_and_b32 exec_lo, exec_lo, vcc_lo
	s_cbranch_execz .LBB19_3
; %bb.6:                                ;   in Loop: Header=BB19_4 Depth=1
	v_add_co_u32 v7, vcc_lo, s16, v5
	v_add_co_ci_u32_e64 v8, null, s17, v6, vcc_lo
	v_add_co_u32 v5, vcc_lo, s18, v5
	v_add_co_ci_u32_e64 v6, null, s19, v6, vcc_lo
	global_load_dword v2, v[7:8], off
	s_mov_b32 s36, 0
	global_load_dword v5, v[5:6], off
	s_waitcnt vmcnt(1)
	v_subrev_nc_u32_e32 v6, s34, v2
	s_waitcnt vmcnt(0)
	v_sub_nc_u32_e32 v15, v5, v2
	v_ashrrev_i32_e32 v7, 31, v6
	v_cmp_lt_i32_e64 s0, 0, v15
	v_lshlrev_b64 v[8:9], 2, v[6:7]
	v_lshlrev_b64 v[10:11], 3, v[6:7]
	v_add_co_u32 v16, vcc_lo, s20, v8
	v_add_co_ci_u32_e64 v17, null, s21, v9, vcc_lo
	v_add_co_u32 v18, vcc_lo, s22, v10
	v_add_co_ci_u32_e64 v19, null, s23, v11, vcc_lo
	s_branch .LBB19_8
.LBB19_7:                               ;   in Loop: Header=BB19_8 Depth=2
	s_or_b32 exec_lo, exec_lo, s37
	v_add_nc_u32_e32 v4, 32, v4
	v_cmp_ge_i32_e32 vcc_lo, v4, v14
	s_or_b32 s36, vcc_lo, s36
	s_andn2_b32 exec_lo, exec_lo, s36
	s_cbranch_execz .LBB19_3
.LBB19_8:                               ;   Parent Loop BB19_4 Depth=1
                                        ; =>  This Loop Header: Depth=2
                                        ;       Child Loop BB19_12 Depth 3
                                        ;       Child Loop BB19_26 Depth 3
	;; [unrolled: 1-line block ×3, first 2 shown]
	v_ashrrev_i32_e32 v5, 31, v4
	v_lshlrev_b64 v[7:8], 2, v[4:5]
	v_add_co_u32 v7, vcc_lo, s28, v7
	v_add_co_ci_u32_e64 v8, null, s29, v8, vcc_lo
	global_load_dword v2, v[7:8], off
	s_waitcnt vmcnt(0)
	v_subrev_nc_u32_e32 v7, s33, v2
	v_ashrrev_i32_e32 v8, 31, v7
	v_lshlrev_b64 v[9:10], 2, v[7:8]
	v_add_co_u32 v11, vcc_lo, s8, v9
	v_add_co_ci_u32_e64 v12, null, s9, v10, vcc_lo
	v_add_co_u32 v9, vcc_lo, s10, v9
	v_add_co_ci_u32_e64 v10, null, s11, v10, vcc_lo
	global_load_dword v2, v[11:12], off
	global_load_dword v11, v[9:10], off
	v_mov_b32_e32 v10, 0
	v_mov_b32_e32 v12, 0
	;; [unrolled: 1-line block ×3, first 2 shown]
	s_waitcnt vmcnt(1)
	v_subrev_nc_u32_e32 v9, s4, v2
	s_waitcnt vmcnt(0)
	v_sub_nc_u32_e32 v20, v11, v2
	v_mov_b32_e32 v2, v10
	s_and_saveexec_b32 s37, s0
	s_cbranch_execz .LBB19_16
; %bb.9:                                ;   in Loop: Header=BB19_8 Depth=2
	v_ashrrev_i32_e32 v10, 31, v9
	v_mov_b32_e32 v12, 0
	v_mov_b32_e32 v13, 0
	;; [unrolled: 1-line block ×3, first 2 shown]
	s_mov_b32 s38, 0
	v_lshlrev_b64 v[21:22], 2, v[9:10]
	v_lshlrev_b64 v[10:11], 3, v[9:10]
                                        ; implicit-def: $sgpr39
	v_add_co_u32 v21, vcc_lo, s12, v21
	v_add_co_ci_u32_e64 v22, null, s13, v22, vcc_lo
	v_add_co_u32 v23, vcc_lo, s14, v10
	v_add_co_ci_u32_e64 v24, null, s15, v11, vcc_lo
	v_mov_b32_e32 v10, 0
	s_branch .LBB19_12
.LBB19_10:                              ;   in Loop: Header=BB19_12 Depth=3
	s_or_b32 exec_lo, exec_lo, s1
	v_cmp_le_i32_e32 vcc_lo, v25, v26
	v_cmp_ge_i32_e64 s1, v25, v26
	v_add_co_ci_u32_e64 v2, null, 0, v2, vcc_lo
	v_add_co_ci_u32_e64 v10, null, 0, v10, s1
	s_andn2_b32 s1, s39, exec_lo
	v_cmp_ge_i32_e32 vcc_lo, v2, v15
	s_and_b32 s39, vcc_lo, exec_lo
	s_or_b32 s39, s1, s39
.LBB19_11:                              ;   in Loop: Header=BB19_12 Depth=3
	s_or_b32 exec_lo, exec_lo, s40
	s_and_b32 s1, exec_lo, s39
	s_or_b32 s38, s1, s38
	s_andn2_b32 exec_lo, exec_lo, s38
	s_cbranch_execz .LBB19_15
.LBB19_12:                              ;   Parent Loop BB19_4 Depth=1
                                        ;     Parent Loop BB19_8 Depth=2
                                        ; =>    This Inner Loop Header: Depth=3
	s_or_b32 s39, s39, exec_lo
	s_mov_b32 s40, exec_lo
	v_cmpx_lt_i32_e64 v10, v20
	s_cbranch_execz .LBB19_11
; %bb.13:                               ;   in Loop: Header=BB19_12 Depth=3
	v_mov_b32_e32 v11, v3
	v_lshlrev_b64 v[25:26], 2, v[2:3]
	s_mov_b32 s1, exec_lo
	v_lshlrev_b64 v[27:28], 2, v[10:11]
	v_add_co_u32 v25, vcc_lo, v16, v25
	v_add_co_ci_u32_e64 v26, null, v17, v26, vcc_lo
	v_add_co_u32 v27, vcc_lo, v21, v27
	v_add_co_ci_u32_e64 v28, null, v22, v28, vcc_lo
	global_load_dword v25, v[25:26], off
	global_load_dword v26, v[27:28], off
	s_waitcnt vmcnt(1)
	v_subrev_nc_u32_e32 v25, s34, v25
	s_waitcnt vmcnt(0)
	v_subrev_nc_u32_e32 v26, s4, v26
	v_cmpx_eq_u32_e64 v25, v26
	s_cbranch_execz .LBB19_10
; %bb.14:                               ;   in Loop: Header=BB19_12 Depth=3
	v_lshlrev_b64 v[27:28], 3, v[2:3]
	v_lshlrev_b64 v[29:30], 3, v[10:11]
	v_add_co_u32 v27, vcc_lo, v18, v27
	v_add_co_ci_u32_e64 v28, null, v19, v28, vcc_lo
	v_add_co_u32 v29, vcc_lo, v23, v29
	v_add_co_ci_u32_e64 v30, null, v24, v30, vcc_lo
	global_load_dwordx2 v[27:28], v[27:28], off
	global_load_dwordx2 v[29:30], v[29:30], off
	s_waitcnt vmcnt(0)
	v_fma_f64 v[12:13], v[27:28], v[29:30], v[12:13]
	s_branch .LBB19_10
.LBB19_15:                              ;   in Loop: Header=BB19_8 Depth=2
	s_or_b32 exec_lo, exec_lo, s38
.LBB19_16:                              ;   in Loop: Header=BB19_8 Depth=2
	s_or_b32 exec_lo, exec_lo, s37
	v_lshlrev_b64 v[21:22], 3, v[4:5]
	v_cmp_le_i32_e64 s1, v1, v7
	s_mov_b32 s37, exec_lo
	v_add_co_u32 v21, vcc_lo, s30, v21
	v_add_co_ci_u32_e64 v22, null, s31, v22, vcc_lo
	global_load_dwordx2 v[21:22], v[21:22], off
	s_waitcnt vmcnt(0)
	v_add_f64 v[11:12], v[21:22], -v[12:13]
	v_cmpx_gt_i32_e64 v1, v7
	s_cbranch_execz .LBB19_18
; %bb.17:                               ;   in Loop: Header=BB19_8 Depth=2
	v_lshlrev_b64 v[21:22], 3, v[7:8]
	v_add_co_u32 v21, vcc_lo, s2, v21
	v_add_co_ci_u32_e64 v22, null, s3, v22, vcc_lo
	global_load_dwordx2 v[21:22], v[21:22], off
	s_waitcnt vmcnt(0)
	v_div_scale_f64 v[23:24], null, v[21:22], v[21:22], v[11:12]
	v_rcp_f64_e32 v[25:26], v[23:24]
	v_fma_f64 v[27:28], -v[23:24], v[25:26], 1.0
	v_fma_f64 v[25:26], v[25:26], v[27:28], v[25:26]
	v_fma_f64 v[27:28], -v[23:24], v[25:26], 1.0
	v_fma_f64 v[25:26], v[25:26], v[27:28], v[25:26]
	v_div_scale_f64 v[27:28], vcc_lo, v[11:12], v[21:22], v[11:12]
	v_mul_f64 v[29:30], v[27:28], v[25:26]
	v_fma_f64 v[23:24], -v[23:24], v[29:30], v[27:28]
	v_div_fmas_f64 v[23:24], v[23:24], v[25:26], v[29:30]
	v_div_fixup_f64 v[11:12], v[23:24], v[21:22], v[11:12]
.LBB19_18:                              ;   in Loop: Header=BB19_8 Depth=2
	s_or_b32 exec_lo, exec_lo, s37
	v_cmp_class_f64_e64 s38, v[11:12], 0x1f8
	s_and_saveexec_b32 s37, s38
	s_cbranch_execz .LBB19_7
; %bb.19:                               ;   in Loop: Header=BB19_8 Depth=2
	s_and_saveexec_b32 s38, s1
	s_xor_b32 s1, exec_lo, s38
	s_cbranch_execz .LBB19_32
; %bb.20:                               ;   in Loop: Header=BB19_8 Depth=2
	s_mov_b32 s38, exec_lo
	v_cmpx_ge_i32_e64 v1, v7
	s_xor_b32 s38, exec_lo, s38
	s_cbranch_execz .LBB19_22
; %bb.21:                               ;   in Loop: Header=BB19_8 Depth=2
	v_lshlrev_b64 v[7:8], 3, v[7:8]
                                        ; implicit-def: $vgpr10
                                        ; implicit-def: $vgpr20
                                        ; implicit-def: $vgpr9
	v_add_co_u32 v7, vcc_lo, s2, v7
	v_add_co_ci_u32_e64 v8, null, s3, v8, vcc_lo
	global_store_dwordx2 v[7:8], v[11:12], off
                                        ; implicit-def: $vgpr11_vgpr12
.LBB19_22:                              ;   in Loop: Header=BB19_8 Depth=2
	s_andn2_saveexec_b32 s38, s38
	s_cbranch_execz .LBB19_31
; %bb.23:                               ;   in Loop: Header=BB19_8 Depth=2
	s_mov_b32 s39, exec_lo
	v_cmpx_lt_i32_e64 v10, v20
	s_cbranch_execz .LBB19_30
; %bb.24:                               ;   in Loop: Header=BB19_8 Depth=2
	s_mov_b32 s40, 0
                                        ; implicit-def: $sgpr41
                                        ; implicit-def: $sgpr43
                                        ; implicit-def: $sgpr42
	s_inst_prefetch 0x1
	s_branch .LBB19_26
	.p2align	6
.LBB19_25:                              ;   in Loop: Header=BB19_26 Depth=3
	s_or_b32 exec_lo, exec_lo, s44
	s_and_b32 s44, exec_lo, s43
	s_or_b32 s40, s44, s40
	s_andn2_b32 s41, s41, exec_lo
	s_and_b32 s44, s42, exec_lo
	s_or_b32 s41, s41, s44
	s_andn2_b32 exec_lo, exec_lo, s40
	s_cbranch_execz .LBB19_28
.LBB19_26:                              ;   Parent Loop BB19_4 Depth=1
                                        ;     Parent Loop BB19_8 Depth=2
                                        ; =>    This Inner Loop Header: Depth=3
	v_add_nc_u32_e32 v7, v9, v10
	s_or_b32 s42, s42, exec_lo
	s_or_b32 s43, s43, exec_lo
	s_mov_b32 s44, exec_lo
	v_ashrrev_i32_e32 v8, 31, v7
	v_lshlrev_b64 v[21:22], 2, v[7:8]
	v_add_co_u32 v21, vcc_lo, s12, v21
	v_add_co_ci_u32_e64 v22, null, s13, v22, vcc_lo
	global_load_dword v2, v[21:22], off
	s_waitcnt vmcnt(0)
	v_subrev_nc_u32_e32 v2, s4, v2
	v_cmpx_ne_u32_e64 v2, v1
	s_cbranch_execz .LBB19_25
; %bb.27:                               ;   in Loop: Header=BB19_26 Depth=3
	v_add_nc_u32_e32 v10, 1, v10
	s_andn2_b32 s43, s43, exec_lo
	s_andn2_b32 s42, s42, exec_lo
	v_cmp_ge_i32_e32 vcc_lo, v10, v20
	s_and_b32 s45, vcc_lo, exec_lo
	s_or_b32 s43, s43, s45
	s_branch .LBB19_25
.LBB19_28:                              ;   in Loop: Header=BB19_8 Depth=2
	s_inst_prefetch 0x2
	s_or_b32 exec_lo, exec_lo, s40
	s_and_saveexec_b32 s40, s41
	s_xor_b32 s40, exec_lo, s40
	s_cbranch_execz .LBB19_30
; %bb.29:                               ;   in Loop: Header=BB19_8 Depth=2
	v_lshlrev_b64 v[7:8], 3, v[7:8]
	v_add_co_u32 v7, vcc_lo, s14, v7
	v_add_co_ci_u32_e64 v8, null, s15, v8, vcc_lo
	global_store_dwordx2 v[7:8], v[11:12], off
.LBB19_30:                              ;   in Loop: Header=BB19_8 Depth=2
	s_or_b32 exec_lo, exec_lo, s39
.LBB19_31:                              ;   in Loop: Header=BB19_8 Depth=2
	s_or_b32 exec_lo, exec_lo, s38
                                        ; implicit-def: $vgpr11_vgpr12
                                        ; implicit-def: $vgpr7_vgpr8
.LBB19_32:                              ;   in Loop: Header=BB19_8 Depth=2
	s_andn2_saveexec_b32 s1, s1
	s_cbranch_execz .LBB19_7
; %bb.33:                               ;   in Loop: Header=BB19_8 Depth=2
	v_cmp_lt_i32_e32 vcc_lo, v2, v15
	s_and_b32 exec_lo, exec_lo, vcc_lo
	s_cbranch_execz .LBB19_7
; %bb.34:                               ;   in Loop: Header=BB19_8 Depth=2
	s_mov_b32 s1, 0
                                        ; implicit-def: $sgpr38
                                        ; implicit-def: $sgpr40
                                        ; implicit-def: $sgpr39
	s_inst_prefetch 0x1
	s_branch .LBB19_36
	.p2align	6
.LBB19_35:                              ;   in Loop: Header=BB19_36 Depth=3
	s_or_b32 exec_lo, exec_lo, s41
	s_and_b32 s41, exec_lo, s40
	s_or_b32 s1, s41, s1
	s_andn2_b32 s38, s38, exec_lo
	s_and_b32 s41, s39, exec_lo
	s_or_b32 s38, s38, s41
	s_andn2_b32 exec_lo, exec_lo, s1
	s_cbranch_execz .LBB19_38
.LBB19_36:                              ;   Parent Loop BB19_4 Depth=1
                                        ;     Parent Loop BB19_8 Depth=2
                                        ; =>    This Inner Loop Header: Depth=3
	v_add_nc_u32_e32 v8, v6, v2
	s_or_b32 s39, s39, exec_lo
	s_or_b32 s40, s40, exec_lo
	s_mov_b32 s41, exec_lo
	v_ashrrev_i32_e32 v9, 31, v8
	v_lshlrev_b64 v[20:21], 2, v[8:9]
	v_add_co_u32 v20, vcc_lo, s20, v20
	v_add_co_ci_u32_e64 v21, null, s21, v21, vcc_lo
	global_load_dword v5, v[20:21], off
	s_waitcnt vmcnt(0)
	v_subrev_nc_u32_e32 v5, s34, v5
	v_cmpx_ne_u32_e64 v5, v7
	s_cbranch_execz .LBB19_35
; %bb.37:                               ;   in Loop: Header=BB19_36 Depth=3
	v_add_nc_u32_e32 v2, 1, v2
	s_andn2_b32 s40, s40, exec_lo
	s_andn2_b32 s39, s39, exec_lo
	v_cmp_ge_i32_e32 vcc_lo, v2, v15
	s_and_b32 s42, vcc_lo, exec_lo
	s_or_b32 s40, s40, s42
	s_branch .LBB19_35
.LBB19_38:                              ;   in Loop: Header=BB19_8 Depth=2
	s_inst_prefetch 0x2
	s_or_b32 exec_lo, exec_lo, s1
	s_and_saveexec_b32 s1, s38
	s_xor_b32 s1, exec_lo, s1
	s_cbranch_execz .LBB19_7
; %bb.39:                               ;   in Loop: Header=BB19_8 Depth=2
	v_lshlrev_b64 v[7:8], 3, v[8:9]
	v_add_co_u32 v7, vcc_lo, s22, v7
	v_add_co_ci_u32_e64 v8, null, s23, v8, vcc_lo
	global_store_dwordx2 v[7:8], v[11:12], off
	s_branch .LBB19_7
.LBB19_40:
	s_endpgm
	.section	.rodata,"a",@progbits
	.p2align	6, 0x0
	.amdhsa_kernel _ZN9rocsparseL25kernel_correction_no_normILi1024ELi32EdiiEEvT3_T2_PKS2_S4_PKS1_PKT1_21rocsparse_index_base_S4_S4_S6_PS7_SA_S4_S4_S6_SB_SA_SB_
		.amdhsa_group_segment_fixed_size 0
		.amdhsa_private_segment_fixed_size 0
		.amdhsa_kernarg_size 136
		.amdhsa_user_sgpr_count 6
		.amdhsa_user_sgpr_private_segment_buffer 1
		.amdhsa_user_sgpr_dispatch_ptr 0
		.amdhsa_user_sgpr_queue_ptr 0
		.amdhsa_user_sgpr_kernarg_segment_ptr 1
		.amdhsa_user_sgpr_dispatch_id 0
		.amdhsa_user_sgpr_flat_scratch_init 0
		.amdhsa_user_sgpr_private_segment_size 0
		.amdhsa_wavefront_size32 1
		.amdhsa_uses_dynamic_stack 0
		.amdhsa_system_sgpr_private_segment_wavefront_offset 0
		.amdhsa_system_sgpr_workgroup_id_x 1
		.amdhsa_system_sgpr_workgroup_id_y 0
		.amdhsa_system_sgpr_workgroup_id_z 0
		.amdhsa_system_sgpr_workgroup_info 0
		.amdhsa_system_vgpr_workitem_id 0
		.amdhsa_next_free_vgpr 31
		.amdhsa_next_free_sgpr 46
		.amdhsa_reserve_vcc 1
		.amdhsa_reserve_flat_scratch 0
		.amdhsa_float_round_mode_32 0
		.amdhsa_float_round_mode_16_64 0
		.amdhsa_float_denorm_mode_32 3
		.amdhsa_float_denorm_mode_16_64 3
		.amdhsa_dx10_clamp 1
		.amdhsa_ieee_mode 1
		.amdhsa_fp16_overflow 0
		.amdhsa_workgroup_processor_mode 1
		.amdhsa_memory_ordered 1
		.amdhsa_forward_progress 1
		.amdhsa_shared_vgpr_count 0
		.amdhsa_exception_fp_ieee_invalid_op 0
		.amdhsa_exception_fp_denorm_src 0
		.amdhsa_exception_fp_ieee_div_zero 0
		.amdhsa_exception_fp_ieee_overflow 0
		.amdhsa_exception_fp_ieee_underflow 0
		.amdhsa_exception_fp_ieee_inexact 0
		.amdhsa_exception_int_div_zero 0
	.end_amdhsa_kernel
	.section	.text._ZN9rocsparseL25kernel_correction_no_normILi1024ELi32EdiiEEvT3_T2_PKS2_S4_PKS1_PKT1_21rocsparse_index_base_S4_S4_S6_PS7_SA_S4_S4_S6_SB_SA_SB_,"axG",@progbits,_ZN9rocsparseL25kernel_correction_no_normILi1024ELi32EdiiEEvT3_T2_PKS2_S4_PKS1_PKT1_21rocsparse_index_base_S4_S4_S6_PS7_SA_S4_S4_S6_SB_SA_SB_,comdat
.Lfunc_end19:
	.size	_ZN9rocsparseL25kernel_correction_no_normILi1024ELi32EdiiEEvT3_T2_PKS2_S4_PKS1_PKT1_21rocsparse_index_base_S4_S4_S6_PS7_SA_S4_S4_S6_SB_SA_SB_, .Lfunc_end19-_ZN9rocsparseL25kernel_correction_no_normILi1024ELi32EdiiEEvT3_T2_PKS2_S4_PKS1_PKT1_21rocsparse_index_base_S4_S4_S6_PS7_SA_S4_S4_S6_SB_SA_SB_
                                        ; -- End function
	.set _ZN9rocsparseL25kernel_correction_no_normILi1024ELi32EdiiEEvT3_T2_PKS2_S4_PKS1_PKT1_21rocsparse_index_base_S4_S4_S6_PS7_SA_S4_S4_S6_SB_SA_SB_.num_vgpr, 31
	.set _ZN9rocsparseL25kernel_correction_no_normILi1024ELi32EdiiEEvT3_T2_PKS2_S4_PKS1_PKT1_21rocsparse_index_base_S4_S4_S6_PS7_SA_S4_S4_S6_SB_SA_SB_.num_agpr, 0
	.set _ZN9rocsparseL25kernel_correction_no_normILi1024ELi32EdiiEEvT3_T2_PKS2_S4_PKS1_PKT1_21rocsparse_index_base_S4_S4_S6_PS7_SA_S4_S4_S6_SB_SA_SB_.numbered_sgpr, 46
	.set _ZN9rocsparseL25kernel_correction_no_normILi1024ELi32EdiiEEvT3_T2_PKS2_S4_PKS1_PKT1_21rocsparse_index_base_S4_S4_S6_PS7_SA_S4_S4_S6_SB_SA_SB_.num_named_barrier, 0
	.set _ZN9rocsparseL25kernel_correction_no_normILi1024ELi32EdiiEEvT3_T2_PKS2_S4_PKS1_PKT1_21rocsparse_index_base_S4_S4_S6_PS7_SA_S4_S4_S6_SB_SA_SB_.private_seg_size, 0
	.set _ZN9rocsparseL25kernel_correction_no_normILi1024ELi32EdiiEEvT3_T2_PKS2_S4_PKS1_PKT1_21rocsparse_index_base_S4_S4_S6_PS7_SA_S4_S4_S6_SB_SA_SB_.uses_vcc, 1
	.set _ZN9rocsparseL25kernel_correction_no_normILi1024ELi32EdiiEEvT3_T2_PKS2_S4_PKS1_PKT1_21rocsparse_index_base_S4_S4_S6_PS7_SA_S4_S4_S6_SB_SA_SB_.uses_flat_scratch, 0
	.set _ZN9rocsparseL25kernel_correction_no_normILi1024ELi32EdiiEEvT3_T2_PKS2_S4_PKS1_PKT1_21rocsparse_index_base_S4_S4_S6_PS7_SA_S4_S4_S6_SB_SA_SB_.has_dyn_sized_stack, 0
	.set _ZN9rocsparseL25kernel_correction_no_normILi1024ELi32EdiiEEvT3_T2_PKS2_S4_PKS1_PKT1_21rocsparse_index_base_S4_S4_S6_PS7_SA_S4_S4_S6_SB_SA_SB_.has_recursion, 0
	.set _ZN9rocsparseL25kernel_correction_no_normILi1024ELi32EdiiEEvT3_T2_PKS2_S4_PKS1_PKT1_21rocsparse_index_base_S4_S4_S6_PS7_SA_S4_S4_S6_SB_SA_SB_.has_indirect_call, 0
	.section	.AMDGPU.csdata,"",@progbits
; Kernel info:
; codeLenInByte = 1728
; TotalNumSgprs: 48
; NumVgprs: 31
; ScratchSize: 0
; MemoryBound: 1
; FloatMode: 240
; IeeeMode: 1
; LDSByteSize: 0 bytes/workgroup (compile time only)
; SGPRBlocks: 0
; VGPRBlocks: 3
; NumSGPRsForWavesPerEU: 48
; NumVGPRsForWavesPerEU: 31
; Occupancy: 16
; WaveLimiterHint : 1
; COMPUTE_PGM_RSRC2:SCRATCH_EN: 0
; COMPUTE_PGM_RSRC2:USER_SGPR: 6
; COMPUTE_PGM_RSRC2:TRAP_HANDLER: 0
; COMPUTE_PGM_RSRC2:TGID_X_EN: 1
; COMPUTE_PGM_RSRC2:TGID_Y_EN: 0
; COMPUTE_PGM_RSRC2:TGID_Z_EN: 0
; COMPUTE_PGM_RSRC2:TIDIG_COMP_CNT: 0
	.section	.text._ZN9rocsparseL25kernel_correction_no_normILi1024ELi64EdiiEEvT3_T2_PKS2_S4_PKS1_PKT1_21rocsparse_index_base_S4_S4_S6_PS7_SA_S4_S4_S6_SB_SA_SB_,"axG",@progbits,_ZN9rocsparseL25kernel_correction_no_normILi1024ELi64EdiiEEvT3_T2_PKS2_S4_PKS1_PKT1_21rocsparse_index_base_S4_S4_S6_PS7_SA_S4_S4_S6_SB_SA_SB_,comdat
	.globl	_ZN9rocsparseL25kernel_correction_no_normILi1024ELi64EdiiEEvT3_T2_PKS2_S4_PKS1_PKT1_21rocsparse_index_base_S4_S4_S6_PS7_SA_S4_S4_S6_SB_SA_SB_ ; -- Begin function _ZN9rocsparseL25kernel_correction_no_normILi1024ELi64EdiiEEvT3_T2_PKS2_S4_PKS1_PKT1_21rocsparse_index_base_S4_S4_S6_PS7_SA_S4_S4_S6_SB_SA_SB_
	.p2align	8
	.type	_ZN9rocsparseL25kernel_correction_no_normILi1024ELi64EdiiEEvT3_T2_PKS2_S4_PKS1_PKT1_21rocsparse_index_base_S4_S4_S6_PS7_SA_S4_S4_S6_SB_SA_SB_,@function
_ZN9rocsparseL25kernel_correction_no_normILi1024ELi64EdiiEEvT3_T2_PKS2_S4_PKS1_PKT1_21rocsparse_index_base_S4_S4_S6_PS7_SA_S4_S4_S6_SB_SA_SB_: ; @_ZN9rocsparseL25kernel_correction_no_normILi1024ELi64EdiiEEvT3_T2_PKS2_S4_PKS1_PKT1_21rocsparse_index_base_S4_S4_S6_PS7_SA_S4_S4_S6_SB_SA_SB_
; %bb.0:
	s_load_dword s7, s[4:5], 0x0
	v_lshrrev_b32_e32 v1, 6, v0
	s_lshl_b32 s6, s6, 10
	s_mov_b32 s0, exec_lo
	v_or_b32_e32 v1, s6, v1
	s_waitcnt lgkmcnt(0)
	v_cmpx_gt_i32_e64 s7, v1
	s_cbranch_execz .LBB20_40
; %bb.1:
	s_addk_i32 s6, 0x400
	v_cmp_gt_u32_e32 vcc_lo, s6, v1
	s_and_b32 exec_lo, exec_lo, vcc_lo
	s_cbranch_execz .LBB20_40
; %bb.2:
	s_clause 0x6
	s_load_dword s33, s[4:5], 0x28
	s_load_dwordx8 s[8:15], s[4:5], 0x58
	s_load_dwordx8 s[16:23], s[4:5], 0x30
	;; [unrolled: 1-line block ×3, first 2 shown]
	s_load_dword s34, s[4:5], 0x50
	s_load_dwordx2 s[2:3], s[4:5], 0x80
	s_load_dword s4, s[4:5], 0x78
	v_and_b32_e32 v0, 63, v0
	v_mov_b32_e32 v3, 0
	s_mov_b32 s5, 0
	s_waitcnt lgkmcnt(0)
	v_subrev_nc_u32_e32 v0, s33, v0
	s_branch .LBB20_4
.LBB20_3:                               ;   in Loop: Header=BB20_4 Depth=1
	s_or_b32 exec_lo, exec_lo, s35
	v_add_nc_u32_e32 v1, 16, v1
	v_cmp_le_u32_e32 vcc_lo, s6, v1
	s_or_b32 s5, vcc_lo, s5
	s_andn2_b32 exec_lo, exec_lo, s5
	s_cbranch_execz .LBB20_40
.LBB20_4:                               ; =>This Loop Header: Depth=1
                                        ;     Child Loop BB20_8 Depth 2
                                        ;       Child Loop BB20_12 Depth 3
                                        ;       Child Loop BB20_26 Depth 3
	;; [unrolled: 1-line block ×3, first 2 shown]
	s_mov_b32 s35, exec_lo
	v_cmpx_gt_i32_e64 s7, v1
	s_cbranch_execz .LBB20_3
; %bb.5:                                ;   in Loop: Header=BB20_4 Depth=1
	v_ashrrev_i32_e32 v2, 31, v1
	v_lshlrev_b64 v[5:6], 2, v[1:2]
	v_add_co_u32 v7, vcc_lo, s24, v5
	v_add_co_ci_u32_e64 v8, null, s25, v6, vcc_lo
	v_add_co_u32 v9, vcc_lo, s26, v5
	v_add_co_ci_u32_e64 v10, null, s27, v6, vcc_lo
	global_load_dword v2, v[7:8], off
	global_load_dword v7, v[9:10], off
	s_waitcnt vmcnt(1)
	v_add_nc_u32_e32 v4, v0, v2
	s_waitcnt vmcnt(0)
	v_subrev_nc_u32_e32 v14, s33, v7
	v_cmp_lt_i32_e32 vcc_lo, v4, v14
	s_and_b32 exec_lo, exec_lo, vcc_lo
	s_cbranch_execz .LBB20_3
; %bb.6:                                ;   in Loop: Header=BB20_4 Depth=1
	v_add_co_u32 v7, vcc_lo, s16, v5
	v_add_co_ci_u32_e64 v8, null, s17, v6, vcc_lo
	v_add_co_u32 v5, vcc_lo, s18, v5
	v_add_co_ci_u32_e64 v6, null, s19, v6, vcc_lo
	global_load_dword v2, v[7:8], off
	s_mov_b32 s36, 0
	global_load_dword v5, v[5:6], off
	s_waitcnt vmcnt(1)
	v_subrev_nc_u32_e32 v6, s34, v2
	s_waitcnt vmcnt(0)
	v_sub_nc_u32_e32 v15, v5, v2
	v_ashrrev_i32_e32 v7, 31, v6
	v_cmp_lt_i32_e64 s0, 0, v15
	v_lshlrev_b64 v[8:9], 2, v[6:7]
	v_lshlrev_b64 v[10:11], 3, v[6:7]
	v_add_co_u32 v16, vcc_lo, s20, v8
	v_add_co_ci_u32_e64 v17, null, s21, v9, vcc_lo
	v_add_co_u32 v18, vcc_lo, s22, v10
	v_add_co_ci_u32_e64 v19, null, s23, v11, vcc_lo
	s_branch .LBB20_8
.LBB20_7:                               ;   in Loop: Header=BB20_8 Depth=2
	s_or_b32 exec_lo, exec_lo, s37
	v_add_nc_u32_e32 v4, 64, v4
	v_cmp_ge_i32_e32 vcc_lo, v4, v14
	s_or_b32 s36, vcc_lo, s36
	s_andn2_b32 exec_lo, exec_lo, s36
	s_cbranch_execz .LBB20_3
.LBB20_8:                               ;   Parent Loop BB20_4 Depth=1
                                        ; =>  This Loop Header: Depth=2
                                        ;       Child Loop BB20_12 Depth 3
                                        ;       Child Loop BB20_26 Depth 3
	;; [unrolled: 1-line block ×3, first 2 shown]
	v_ashrrev_i32_e32 v5, 31, v4
	v_lshlrev_b64 v[7:8], 2, v[4:5]
	v_add_co_u32 v7, vcc_lo, s28, v7
	v_add_co_ci_u32_e64 v8, null, s29, v8, vcc_lo
	global_load_dword v2, v[7:8], off
	s_waitcnt vmcnt(0)
	v_subrev_nc_u32_e32 v7, s33, v2
	v_ashrrev_i32_e32 v8, 31, v7
	v_lshlrev_b64 v[9:10], 2, v[7:8]
	v_add_co_u32 v11, vcc_lo, s8, v9
	v_add_co_ci_u32_e64 v12, null, s9, v10, vcc_lo
	v_add_co_u32 v9, vcc_lo, s10, v9
	v_add_co_ci_u32_e64 v10, null, s11, v10, vcc_lo
	global_load_dword v2, v[11:12], off
	global_load_dword v11, v[9:10], off
	v_mov_b32_e32 v10, 0
	v_mov_b32_e32 v12, 0
	;; [unrolled: 1-line block ×3, first 2 shown]
	s_waitcnt vmcnt(1)
	v_subrev_nc_u32_e32 v9, s4, v2
	s_waitcnt vmcnt(0)
	v_sub_nc_u32_e32 v20, v11, v2
	v_mov_b32_e32 v2, v10
	s_and_saveexec_b32 s37, s0
	s_cbranch_execz .LBB20_16
; %bb.9:                                ;   in Loop: Header=BB20_8 Depth=2
	v_ashrrev_i32_e32 v10, 31, v9
	v_mov_b32_e32 v12, 0
	v_mov_b32_e32 v13, 0
	;; [unrolled: 1-line block ×3, first 2 shown]
	s_mov_b32 s38, 0
	v_lshlrev_b64 v[21:22], 2, v[9:10]
	v_lshlrev_b64 v[10:11], 3, v[9:10]
                                        ; implicit-def: $sgpr39
	v_add_co_u32 v21, vcc_lo, s12, v21
	v_add_co_ci_u32_e64 v22, null, s13, v22, vcc_lo
	v_add_co_u32 v23, vcc_lo, s14, v10
	v_add_co_ci_u32_e64 v24, null, s15, v11, vcc_lo
	v_mov_b32_e32 v10, 0
	s_branch .LBB20_12
.LBB20_10:                              ;   in Loop: Header=BB20_12 Depth=3
	s_or_b32 exec_lo, exec_lo, s1
	v_cmp_le_i32_e32 vcc_lo, v25, v26
	v_cmp_ge_i32_e64 s1, v25, v26
	v_add_co_ci_u32_e64 v2, null, 0, v2, vcc_lo
	v_add_co_ci_u32_e64 v10, null, 0, v10, s1
	s_andn2_b32 s1, s39, exec_lo
	v_cmp_ge_i32_e32 vcc_lo, v2, v15
	s_and_b32 s39, vcc_lo, exec_lo
	s_or_b32 s39, s1, s39
.LBB20_11:                              ;   in Loop: Header=BB20_12 Depth=3
	s_or_b32 exec_lo, exec_lo, s40
	s_and_b32 s1, exec_lo, s39
	s_or_b32 s38, s1, s38
	s_andn2_b32 exec_lo, exec_lo, s38
	s_cbranch_execz .LBB20_15
.LBB20_12:                              ;   Parent Loop BB20_4 Depth=1
                                        ;     Parent Loop BB20_8 Depth=2
                                        ; =>    This Inner Loop Header: Depth=3
	s_or_b32 s39, s39, exec_lo
	s_mov_b32 s40, exec_lo
	v_cmpx_lt_i32_e64 v10, v20
	s_cbranch_execz .LBB20_11
; %bb.13:                               ;   in Loop: Header=BB20_12 Depth=3
	v_mov_b32_e32 v11, v3
	v_lshlrev_b64 v[25:26], 2, v[2:3]
	s_mov_b32 s1, exec_lo
	v_lshlrev_b64 v[27:28], 2, v[10:11]
	v_add_co_u32 v25, vcc_lo, v16, v25
	v_add_co_ci_u32_e64 v26, null, v17, v26, vcc_lo
	v_add_co_u32 v27, vcc_lo, v21, v27
	v_add_co_ci_u32_e64 v28, null, v22, v28, vcc_lo
	global_load_dword v25, v[25:26], off
	global_load_dword v26, v[27:28], off
	s_waitcnt vmcnt(1)
	v_subrev_nc_u32_e32 v25, s34, v25
	s_waitcnt vmcnt(0)
	v_subrev_nc_u32_e32 v26, s4, v26
	v_cmpx_eq_u32_e64 v25, v26
	s_cbranch_execz .LBB20_10
; %bb.14:                               ;   in Loop: Header=BB20_12 Depth=3
	v_lshlrev_b64 v[27:28], 3, v[2:3]
	v_lshlrev_b64 v[29:30], 3, v[10:11]
	v_add_co_u32 v27, vcc_lo, v18, v27
	v_add_co_ci_u32_e64 v28, null, v19, v28, vcc_lo
	v_add_co_u32 v29, vcc_lo, v23, v29
	v_add_co_ci_u32_e64 v30, null, v24, v30, vcc_lo
	global_load_dwordx2 v[27:28], v[27:28], off
	global_load_dwordx2 v[29:30], v[29:30], off
	s_waitcnt vmcnt(0)
	v_fma_f64 v[12:13], v[27:28], v[29:30], v[12:13]
	s_branch .LBB20_10
.LBB20_15:                              ;   in Loop: Header=BB20_8 Depth=2
	s_or_b32 exec_lo, exec_lo, s38
.LBB20_16:                              ;   in Loop: Header=BB20_8 Depth=2
	s_or_b32 exec_lo, exec_lo, s37
	v_lshlrev_b64 v[21:22], 3, v[4:5]
	v_cmp_le_i32_e64 s1, v1, v7
	s_mov_b32 s37, exec_lo
	v_add_co_u32 v21, vcc_lo, s30, v21
	v_add_co_ci_u32_e64 v22, null, s31, v22, vcc_lo
	global_load_dwordx2 v[21:22], v[21:22], off
	s_waitcnt vmcnt(0)
	v_add_f64 v[11:12], v[21:22], -v[12:13]
	v_cmpx_gt_i32_e64 v1, v7
	s_cbranch_execz .LBB20_18
; %bb.17:                               ;   in Loop: Header=BB20_8 Depth=2
	v_lshlrev_b64 v[21:22], 3, v[7:8]
	v_add_co_u32 v21, vcc_lo, s2, v21
	v_add_co_ci_u32_e64 v22, null, s3, v22, vcc_lo
	global_load_dwordx2 v[21:22], v[21:22], off
	s_waitcnt vmcnt(0)
	v_div_scale_f64 v[23:24], null, v[21:22], v[21:22], v[11:12]
	v_rcp_f64_e32 v[25:26], v[23:24]
	v_fma_f64 v[27:28], -v[23:24], v[25:26], 1.0
	v_fma_f64 v[25:26], v[25:26], v[27:28], v[25:26]
	v_fma_f64 v[27:28], -v[23:24], v[25:26], 1.0
	v_fma_f64 v[25:26], v[25:26], v[27:28], v[25:26]
	v_div_scale_f64 v[27:28], vcc_lo, v[11:12], v[21:22], v[11:12]
	v_mul_f64 v[29:30], v[27:28], v[25:26]
	v_fma_f64 v[23:24], -v[23:24], v[29:30], v[27:28]
	v_div_fmas_f64 v[23:24], v[23:24], v[25:26], v[29:30]
	v_div_fixup_f64 v[11:12], v[23:24], v[21:22], v[11:12]
.LBB20_18:                              ;   in Loop: Header=BB20_8 Depth=2
	s_or_b32 exec_lo, exec_lo, s37
	v_cmp_class_f64_e64 s38, v[11:12], 0x1f8
	s_and_saveexec_b32 s37, s38
	s_cbranch_execz .LBB20_7
; %bb.19:                               ;   in Loop: Header=BB20_8 Depth=2
	s_and_saveexec_b32 s38, s1
	s_xor_b32 s1, exec_lo, s38
	s_cbranch_execz .LBB20_32
; %bb.20:                               ;   in Loop: Header=BB20_8 Depth=2
	s_mov_b32 s38, exec_lo
	v_cmpx_ge_i32_e64 v1, v7
	s_xor_b32 s38, exec_lo, s38
	s_cbranch_execz .LBB20_22
; %bb.21:                               ;   in Loop: Header=BB20_8 Depth=2
	v_lshlrev_b64 v[7:8], 3, v[7:8]
                                        ; implicit-def: $vgpr10
                                        ; implicit-def: $vgpr20
                                        ; implicit-def: $vgpr9
	v_add_co_u32 v7, vcc_lo, s2, v7
	v_add_co_ci_u32_e64 v8, null, s3, v8, vcc_lo
	global_store_dwordx2 v[7:8], v[11:12], off
                                        ; implicit-def: $vgpr11_vgpr12
.LBB20_22:                              ;   in Loop: Header=BB20_8 Depth=2
	s_andn2_saveexec_b32 s38, s38
	s_cbranch_execz .LBB20_31
; %bb.23:                               ;   in Loop: Header=BB20_8 Depth=2
	s_mov_b32 s39, exec_lo
	v_cmpx_lt_i32_e64 v10, v20
	s_cbranch_execz .LBB20_30
; %bb.24:                               ;   in Loop: Header=BB20_8 Depth=2
	s_mov_b32 s40, 0
                                        ; implicit-def: $sgpr41
                                        ; implicit-def: $sgpr43
                                        ; implicit-def: $sgpr42
	s_inst_prefetch 0x1
	s_branch .LBB20_26
	.p2align	6
.LBB20_25:                              ;   in Loop: Header=BB20_26 Depth=3
	s_or_b32 exec_lo, exec_lo, s44
	s_and_b32 s44, exec_lo, s43
	s_or_b32 s40, s44, s40
	s_andn2_b32 s41, s41, exec_lo
	s_and_b32 s44, s42, exec_lo
	s_or_b32 s41, s41, s44
	s_andn2_b32 exec_lo, exec_lo, s40
	s_cbranch_execz .LBB20_28
.LBB20_26:                              ;   Parent Loop BB20_4 Depth=1
                                        ;     Parent Loop BB20_8 Depth=2
                                        ; =>    This Inner Loop Header: Depth=3
	v_add_nc_u32_e32 v7, v9, v10
	s_or_b32 s42, s42, exec_lo
	s_or_b32 s43, s43, exec_lo
	s_mov_b32 s44, exec_lo
	v_ashrrev_i32_e32 v8, 31, v7
	v_lshlrev_b64 v[21:22], 2, v[7:8]
	v_add_co_u32 v21, vcc_lo, s12, v21
	v_add_co_ci_u32_e64 v22, null, s13, v22, vcc_lo
	global_load_dword v2, v[21:22], off
	s_waitcnt vmcnt(0)
	v_subrev_nc_u32_e32 v2, s4, v2
	v_cmpx_ne_u32_e64 v2, v1
	s_cbranch_execz .LBB20_25
; %bb.27:                               ;   in Loop: Header=BB20_26 Depth=3
	v_add_nc_u32_e32 v10, 1, v10
	s_andn2_b32 s43, s43, exec_lo
	s_andn2_b32 s42, s42, exec_lo
	v_cmp_ge_i32_e32 vcc_lo, v10, v20
	s_and_b32 s45, vcc_lo, exec_lo
	s_or_b32 s43, s43, s45
	s_branch .LBB20_25
.LBB20_28:                              ;   in Loop: Header=BB20_8 Depth=2
	s_inst_prefetch 0x2
	s_or_b32 exec_lo, exec_lo, s40
	s_and_saveexec_b32 s40, s41
	s_xor_b32 s40, exec_lo, s40
	s_cbranch_execz .LBB20_30
; %bb.29:                               ;   in Loop: Header=BB20_8 Depth=2
	v_lshlrev_b64 v[7:8], 3, v[7:8]
	v_add_co_u32 v7, vcc_lo, s14, v7
	v_add_co_ci_u32_e64 v8, null, s15, v8, vcc_lo
	global_store_dwordx2 v[7:8], v[11:12], off
.LBB20_30:                              ;   in Loop: Header=BB20_8 Depth=2
	s_or_b32 exec_lo, exec_lo, s39
.LBB20_31:                              ;   in Loop: Header=BB20_8 Depth=2
	s_or_b32 exec_lo, exec_lo, s38
                                        ; implicit-def: $vgpr11_vgpr12
                                        ; implicit-def: $vgpr7_vgpr8
.LBB20_32:                              ;   in Loop: Header=BB20_8 Depth=2
	s_andn2_saveexec_b32 s1, s1
	s_cbranch_execz .LBB20_7
; %bb.33:                               ;   in Loop: Header=BB20_8 Depth=2
	v_cmp_lt_i32_e32 vcc_lo, v2, v15
	s_and_b32 exec_lo, exec_lo, vcc_lo
	s_cbranch_execz .LBB20_7
; %bb.34:                               ;   in Loop: Header=BB20_8 Depth=2
	s_mov_b32 s1, 0
                                        ; implicit-def: $sgpr38
                                        ; implicit-def: $sgpr40
                                        ; implicit-def: $sgpr39
	s_inst_prefetch 0x1
	s_branch .LBB20_36
	.p2align	6
.LBB20_35:                              ;   in Loop: Header=BB20_36 Depth=3
	s_or_b32 exec_lo, exec_lo, s41
	s_and_b32 s41, exec_lo, s40
	s_or_b32 s1, s41, s1
	s_andn2_b32 s38, s38, exec_lo
	s_and_b32 s41, s39, exec_lo
	s_or_b32 s38, s38, s41
	s_andn2_b32 exec_lo, exec_lo, s1
	s_cbranch_execz .LBB20_38
.LBB20_36:                              ;   Parent Loop BB20_4 Depth=1
                                        ;     Parent Loop BB20_8 Depth=2
                                        ; =>    This Inner Loop Header: Depth=3
	v_add_nc_u32_e32 v8, v6, v2
	s_or_b32 s39, s39, exec_lo
	s_or_b32 s40, s40, exec_lo
	s_mov_b32 s41, exec_lo
	v_ashrrev_i32_e32 v9, 31, v8
	v_lshlrev_b64 v[20:21], 2, v[8:9]
	v_add_co_u32 v20, vcc_lo, s20, v20
	v_add_co_ci_u32_e64 v21, null, s21, v21, vcc_lo
	global_load_dword v5, v[20:21], off
	s_waitcnt vmcnt(0)
	v_subrev_nc_u32_e32 v5, s34, v5
	v_cmpx_ne_u32_e64 v5, v7
	s_cbranch_execz .LBB20_35
; %bb.37:                               ;   in Loop: Header=BB20_36 Depth=3
	v_add_nc_u32_e32 v2, 1, v2
	s_andn2_b32 s40, s40, exec_lo
	s_andn2_b32 s39, s39, exec_lo
	v_cmp_ge_i32_e32 vcc_lo, v2, v15
	s_and_b32 s42, vcc_lo, exec_lo
	s_or_b32 s40, s40, s42
	s_branch .LBB20_35
.LBB20_38:                              ;   in Loop: Header=BB20_8 Depth=2
	s_inst_prefetch 0x2
	s_or_b32 exec_lo, exec_lo, s1
	s_and_saveexec_b32 s1, s38
	s_xor_b32 s1, exec_lo, s1
	s_cbranch_execz .LBB20_7
; %bb.39:                               ;   in Loop: Header=BB20_8 Depth=2
	v_lshlrev_b64 v[7:8], 3, v[8:9]
	v_add_co_u32 v7, vcc_lo, s22, v7
	v_add_co_ci_u32_e64 v8, null, s23, v8, vcc_lo
	global_store_dwordx2 v[7:8], v[11:12], off
	s_branch .LBB20_7
.LBB20_40:
	s_endpgm
	.section	.rodata,"a",@progbits
	.p2align	6, 0x0
	.amdhsa_kernel _ZN9rocsparseL25kernel_correction_no_normILi1024ELi64EdiiEEvT3_T2_PKS2_S4_PKS1_PKT1_21rocsparse_index_base_S4_S4_S6_PS7_SA_S4_S4_S6_SB_SA_SB_
		.amdhsa_group_segment_fixed_size 0
		.amdhsa_private_segment_fixed_size 0
		.amdhsa_kernarg_size 136
		.amdhsa_user_sgpr_count 6
		.amdhsa_user_sgpr_private_segment_buffer 1
		.amdhsa_user_sgpr_dispatch_ptr 0
		.amdhsa_user_sgpr_queue_ptr 0
		.amdhsa_user_sgpr_kernarg_segment_ptr 1
		.amdhsa_user_sgpr_dispatch_id 0
		.amdhsa_user_sgpr_flat_scratch_init 0
		.amdhsa_user_sgpr_private_segment_size 0
		.amdhsa_wavefront_size32 1
		.amdhsa_uses_dynamic_stack 0
		.amdhsa_system_sgpr_private_segment_wavefront_offset 0
		.amdhsa_system_sgpr_workgroup_id_x 1
		.amdhsa_system_sgpr_workgroup_id_y 0
		.amdhsa_system_sgpr_workgroup_id_z 0
		.amdhsa_system_sgpr_workgroup_info 0
		.amdhsa_system_vgpr_workitem_id 0
		.amdhsa_next_free_vgpr 31
		.amdhsa_next_free_sgpr 46
		.amdhsa_reserve_vcc 1
		.amdhsa_reserve_flat_scratch 0
		.amdhsa_float_round_mode_32 0
		.amdhsa_float_round_mode_16_64 0
		.amdhsa_float_denorm_mode_32 3
		.amdhsa_float_denorm_mode_16_64 3
		.amdhsa_dx10_clamp 1
		.amdhsa_ieee_mode 1
		.amdhsa_fp16_overflow 0
		.amdhsa_workgroup_processor_mode 1
		.amdhsa_memory_ordered 1
		.amdhsa_forward_progress 1
		.amdhsa_shared_vgpr_count 0
		.amdhsa_exception_fp_ieee_invalid_op 0
		.amdhsa_exception_fp_denorm_src 0
		.amdhsa_exception_fp_ieee_div_zero 0
		.amdhsa_exception_fp_ieee_overflow 0
		.amdhsa_exception_fp_ieee_underflow 0
		.amdhsa_exception_fp_ieee_inexact 0
		.amdhsa_exception_int_div_zero 0
	.end_amdhsa_kernel
	.section	.text._ZN9rocsparseL25kernel_correction_no_normILi1024ELi64EdiiEEvT3_T2_PKS2_S4_PKS1_PKT1_21rocsparse_index_base_S4_S4_S6_PS7_SA_S4_S4_S6_SB_SA_SB_,"axG",@progbits,_ZN9rocsparseL25kernel_correction_no_normILi1024ELi64EdiiEEvT3_T2_PKS2_S4_PKS1_PKT1_21rocsparse_index_base_S4_S4_S6_PS7_SA_S4_S4_S6_SB_SA_SB_,comdat
.Lfunc_end20:
	.size	_ZN9rocsparseL25kernel_correction_no_normILi1024ELi64EdiiEEvT3_T2_PKS2_S4_PKS1_PKT1_21rocsparse_index_base_S4_S4_S6_PS7_SA_S4_S4_S6_SB_SA_SB_, .Lfunc_end20-_ZN9rocsparseL25kernel_correction_no_normILi1024ELi64EdiiEEvT3_T2_PKS2_S4_PKS1_PKT1_21rocsparse_index_base_S4_S4_S6_PS7_SA_S4_S4_S6_SB_SA_SB_
                                        ; -- End function
	.set _ZN9rocsparseL25kernel_correction_no_normILi1024ELi64EdiiEEvT3_T2_PKS2_S4_PKS1_PKT1_21rocsparse_index_base_S4_S4_S6_PS7_SA_S4_S4_S6_SB_SA_SB_.num_vgpr, 31
	.set _ZN9rocsparseL25kernel_correction_no_normILi1024ELi64EdiiEEvT3_T2_PKS2_S4_PKS1_PKT1_21rocsparse_index_base_S4_S4_S6_PS7_SA_S4_S4_S6_SB_SA_SB_.num_agpr, 0
	.set _ZN9rocsparseL25kernel_correction_no_normILi1024ELi64EdiiEEvT3_T2_PKS2_S4_PKS1_PKT1_21rocsparse_index_base_S4_S4_S6_PS7_SA_S4_S4_S6_SB_SA_SB_.numbered_sgpr, 46
	.set _ZN9rocsparseL25kernel_correction_no_normILi1024ELi64EdiiEEvT3_T2_PKS2_S4_PKS1_PKT1_21rocsparse_index_base_S4_S4_S6_PS7_SA_S4_S4_S6_SB_SA_SB_.num_named_barrier, 0
	.set _ZN9rocsparseL25kernel_correction_no_normILi1024ELi64EdiiEEvT3_T2_PKS2_S4_PKS1_PKT1_21rocsparse_index_base_S4_S4_S6_PS7_SA_S4_S4_S6_SB_SA_SB_.private_seg_size, 0
	.set _ZN9rocsparseL25kernel_correction_no_normILi1024ELi64EdiiEEvT3_T2_PKS2_S4_PKS1_PKT1_21rocsparse_index_base_S4_S4_S6_PS7_SA_S4_S4_S6_SB_SA_SB_.uses_vcc, 1
	.set _ZN9rocsparseL25kernel_correction_no_normILi1024ELi64EdiiEEvT3_T2_PKS2_S4_PKS1_PKT1_21rocsparse_index_base_S4_S4_S6_PS7_SA_S4_S4_S6_SB_SA_SB_.uses_flat_scratch, 0
	.set _ZN9rocsparseL25kernel_correction_no_normILi1024ELi64EdiiEEvT3_T2_PKS2_S4_PKS1_PKT1_21rocsparse_index_base_S4_S4_S6_PS7_SA_S4_S4_S6_SB_SA_SB_.has_dyn_sized_stack, 0
	.set _ZN9rocsparseL25kernel_correction_no_normILi1024ELi64EdiiEEvT3_T2_PKS2_S4_PKS1_PKT1_21rocsparse_index_base_S4_S4_S6_PS7_SA_S4_S4_S6_SB_SA_SB_.has_recursion, 0
	.set _ZN9rocsparseL25kernel_correction_no_normILi1024ELi64EdiiEEvT3_T2_PKS2_S4_PKS1_PKT1_21rocsparse_index_base_S4_S4_S6_PS7_SA_S4_S4_S6_SB_SA_SB_.has_indirect_call, 0
	.section	.AMDGPU.csdata,"",@progbits
; Kernel info:
; codeLenInByte = 1728
; TotalNumSgprs: 48
; NumVgprs: 31
; ScratchSize: 0
; MemoryBound: 1
; FloatMode: 240
; IeeeMode: 1
; LDSByteSize: 0 bytes/workgroup (compile time only)
; SGPRBlocks: 0
; VGPRBlocks: 3
; NumSGPRsForWavesPerEU: 48
; NumVGPRsForWavesPerEU: 31
; Occupancy: 16
; WaveLimiterHint : 1
; COMPUTE_PGM_RSRC2:SCRATCH_EN: 0
; COMPUTE_PGM_RSRC2:USER_SGPR: 6
; COMPUTE_PGM_RSRC2:TRAP_HANDLER: 0
; COMPUTE_PGM_RSRC2:TGID_X_EN: 1
; COMPUTE_PGM_RSRC2:TGID_Y_EN: 0
; COMPUTE_PGM_RSRC2:TGID_Z_EN: 0
; COMPUTE_PGM_RSRC2:TIDIG_COMP_CNT: 0
	.section	.text._ZN9rocsparseL17kernel_correctionILi1024ELi1EdiiEEvT3_T2_PKS2_S4_PKS1_PKT1_21rocsparse_index_base_S4_S4_S6_PS7_SA_S4_S4_S6_SB_SA_SB_PNS_15floating_traitsIS7_E6data_tEPKSE_,"axG",@progbits,_ZN9rocsparseL17kernel_correctionILi1024ELi1EdiiEEvT3_T2_PKS2_S4_PKS1_PKT1_21rocsparse_index_base_S4_S4_S6_PS7_SA_S4_S4_S6_SB_SA_SB_PNS_15floating_traitsIS7_E6data_tEPKSE_,comdat
	.globl	_ZN9rocsparseL17kernel_correctionILi1024ELi1EdiiEEvT3_T2_PKS2_S4_PKS1_PKT1_21rocsparse_index_base_S4_S4_S6_PS7_SA_S4_S4_S6_SB_SA_SB_PNS_15floating_traitsIS7_E6data_tEPKSE_ ; -- Begin function _ZN9rocsparseL17kernel_correctionILi1024ELi1EdiiEEvT3_T2_PKS2_S4_PKS1_PKT1_21rocsparse_index_base_S4_S4_S6_PS7_SA_S4_S4_S6_SB_SA_SB_PNS_15floating_traitsIS7_E6data_tEPKSE_
	.p2align	8
	.type	_ZN9rocsparseL17kernel_correctionILi1024ELi1EdiiEEvT3_T2_PKS2_S4_PKS1_PKT1_21rocsparse_index_base_S4_S4_S6_PS7_SA_S4_S4_S6_SB_SA_SB_PNS_15floating_traitsIS7_E6data_tEPKSE_,@function
_ZN9rocsparseL17kernel_correctionILi1024ELi1EdiiEEvT3_T2_PKS2_S4_PKS1_PKT1_21rocsparse_index_base_S4_S4_S6_PS7_SA_S4_S4_S6_SB_SA_SB_PNS_15floating_traitsIS7_E6data_tEPKSE_: ; @_ZN9rocsparseL17kernel_correctionILi1024ELi1EdiiEEvT3_T2_PKS2_S4_PKS1_PKT1_21rocsparse_index_base_S4_S4_S6_PS7_SA_S4_S4_S6_SB_SA_SB_PNS_15floating_traitsIS7_E6data_tEPKSE_
; %bb.0:
	s_load_dword s33, s[4:5], 0x0
	s_lshl_b32 s35, s6, 10
	v_mov_b32_e32 v3, 0
	v_or_b32_e32 v1, s35, v0
	v_mov_b32_e32 v4, 0
	s_mov_b32 s3, exec_lo
	s_waitcnt lgkmcnt(0)
	v_cmpx_gt_i32_e64 s33, v1
	s_cbranch_execz .LBB21_64
; %bb.1:
	v_mov_b32_e32 v3, 0
	v_mov_b32_e32 v4, 0
	s_addk_i32 s35, 0x400
	s_mov_b32 s34, exec_lo
	v_cmpx_gt_u32_e64 s35, v1
	s_cbranch_execz .LBB21_63
; %bb.2:
	s_clause 0x6
	s_load_dwordx8 s[8:15], s[4:5], 0x58
	s_load_dwordx8 s[16:23], s[4:5], 0x30
	;; [unrolled: 1-line block ×3, first 2 shown]
	s_load_dword s36, s[4:5], 0x28
	s_load_dword s37, s[4:5], 0x50
	s_load_dwordx2 s[6:7], s[4:5], 0x80
	s_load_dword s38, s[4:5], 0x78
	v_mov_b32_e32 v3, 0
	v_mov_b32_e32 v4, 0
	;; [unrolled: 1-line block ×3, first 2 shown]
	s_mov_b32 s39, 0
	s_branch .LBB21_6
.LBB21_3:                               ;   in Loop: Header=BB21_6 Depth=1
	s_or_b32 exec_lo, exec_lo, s42
.LBB21_4:                               ;   in Loop: Header=BB21_6 Depth=1
	s_or_b32 exec_lo, exec_lo, s41
.LBB21_5:                               ;   in Loop: Header=BB21_6 Depth=1
	s_or_b32 exec_lo, exec_lo, s40
	v_add_nc_u32_e32 v1, 0x400, v1
	v_cmp_le_u32_e32 vcc_lo, s35, v1
	s_or_b32 s39, vcc_lo, s39
	s_andn2_b32 exec_lo, exec_lo, s39
	s_cbranch_execz .LBB21_62
.LBB21_6:                               ; =>This Loop Header: Depth=1
                                        ;     Child Loop BB21_10 Depth 2
                                        ;       Child Loop BB21_14 Depth 3
                                        ;       Child Loop BB21_27 Depth 3
	;; [unrolled: 1-line block ×5, first 2 shown]
	s_mov_b32 s40, exec_lo
	v_cmpx_gt_i32_e64 s33, v1
	s_cbranch_execz .LBB21_5
; %bb.7:                                ;   in Loop: Header=BB21_6 Depth=1
	v_ashrrev_i32_e32 v2, 31, v1
	s_mov_b32 s41, exec_lo
	v_lshlrev_b64 v[7:8], 2, v[1:2]
	s_waitcnt lgkmcnt(0)
	v_add_co_u32 v9, vcc_lo, s24, v7
	v_add_co_ci_u32_e64 v10, null, s25, v8, vcc_lo
	v_add_co_u32 v11, vcc_lo, s26, v7
	v_add_co_ci_u32_e64 v12, null, s27, v8, vcc_lo
	global_load_dword v5, v[9:10], off
	global_load_dword v2, v[11:12], off
	s_waitcnt vmcnt(0)
	v_cmpx_lt_i32_e64 v5, v2
	s_cbranch_execz .LBB21_4
; %bb.8:                                ;   in Loop: Header=BB21_6 Depth=1
	v_add_co_u32 v9, vcc_lo, s16, v7
	v_add_co_ci_u32_e64 v10, null, s17, v8, vcc_lo
	v_add_co_u32 v7, vcc_lo, s18, v7
	v_add_co_ci_u32_e64 v8, null, s19, v8, vcc_lo
	global_load_dword v12, v[9:10], off
	v_subrev_nc_u32_e32 v2, s36, v2
	v_subrev_nc_u32_e32 v9, s36, v5
	global_load_dword v13, v[7:8], off
	s_mov_b32 s42, 0
	s_waitcnt vmcnt(1)
	v_subrev_nc_u32_e32 v7, s37, v12
	s_waitcnt vmcnt(0)
	v_sub_nc_u32_e32 v23, v13, v12
	v_ashrrev_i32_e32 v8, 31, v7
	v_cmp_lt_i32_e64 s0, 0, v23
	v_lshlrev_b64 v[10:11], 2, v[7:8]
	v_lshlrev_b64 v[12:13], 3, v[7:8]
	v_add_co_u32 v8, vcc_lo, s20, v10
	v_add_co_ci_u32_e64 v24, null, s21, v11, vcc_lo
	v_add_co_u32 v25, vcc_lo, s22, v12
	v_add_co_ci_u32_e64 v26, null, s23, v13, vcc_lo
	s_branch .LBB21_10
.LBB21_9:                               ;   in Loop: Header=BB21_10 Depth=2
	s_or_b32 exec_lo, exec_lo, s2
	v_add_f64 v[10:11], v[17:18], -v[11:12]
	v_add_nc_u32_e32 v9, 1, v9
	v_cmp_ge_i32_e32 vcc_lo, v9, v2
	v_cmp_nlg_f64_e64 s1, 0x7ff00000, |v[10:11]|
	v_cmp_gt_f64_e64 s2, v[3:4], |v[10:11]|
	v_and_b32_e32 v5, 0x7fffffff, v11
	s_or_b32 s1, s1, s2
	s_or_b32 s42, vcc_lo, s42
	v_cndmask_b32_e64 v4, v5, v4, s1
	v_cndmask_b32_e64 v3, v10, v3, s1
	s_andn2_b32 exec_lo, exec_lo, s42
	s_cbranch_execz .LBB21_3
.LBB21_10:                              ;   Parent Loop BB21_6 Depth=1
                                        ; =>  This Loop Header: Depth=2
                                        ;       Child Loop BB21_14 Depth 3
                                        ;       Child Loop BB21_27 Depth 3
	;; [unrolled: 1-line block ×5, first 2 shown]
	v_ashrrev_i32_e32 v10, 31, v9
	v_lshlrev_b64 v[11:12], 2, v[9:10]
	v_add_co_u32 v11, vcc_lo, s28, v11
	v_add_co_ci_u32_e64 v12, null, s29, v12, vcc_lo
	global_load_dword v5, v[11:12], off
	s_waitcnt vmcnt(0)
	v_subrev_nc_u32_e32 v13, s36, v5
	v_ashrrev_i32_e32 v14, 31, v13
	v_lshlrev_b64 v[11:12], 2, v[13:14]
	v_add_co_u32 v15, vcc_lo, s8, v11
	v_add_co_ci_u32_e64 v16, null, s9, v12, vcc_lo
	v_add_co_u32 v11, vcc_lo, s10, v11
	v_add_co_ci_u32_e64 v12, null, s11, v12, vcc_lo
	global_load_dword v5, v[15:16], off
	global_load_dword v17, v[11:12], off
	v_mov_b32_e32 v16, 0
	v_mov_b32_e32 v11, 0
	;; [unrolled: 1-line block ×3, first 2 shown]
	s_waitcnt vmcnt(1)
	v_subrev_nc_u32_e32 v15, s38, v5
	s_waitcnt vmcnt(0)
	v_sub_nc_u32_e32 v27, v17, v5
	v_mov_b32_e32 v5, v16
	s_and_saveexec_b32 s2, s0
	s_cbranch_execz .LBB21_18
; %bb.11:                               ;   in Loop: Header=BB21_10 Depth=2
	v_ashrrev_i32_e32 v16, 31, v15
	v_mov_b32_e32 v11, 0
	v_mov_b32_e32 v12, 0
	;; [unrolled: 1-line block ×3, first 2 shown]
	s_mov_b32 s43, 0
	v_lshlrev_b64 v[18:19], 2, v[15:16]
	v_lshlrev_b64 v[16:17], 3, v[15:16]
                                        ; implicit-def: $sgpr44
	v_add_co_u32 v18, vcc_lo, s12, v18
	v_add_co_ci_u32_e64 v19, null, s13, v19, vcc_lo
	v_add_co_u32 v20, vcc_lo, s14, v16
	v_add_co_ci_u32_e64 v21, null, s15, v17, vcc_lo
	v_mov_b32_e32 v16, 0
	s_branch .LBB21_14
.LBB21_12:                              ;   in Loop: Header=BB21_14 Depth=3
	s_or_b32 exec_lo, exec_lo, s1
	v_cmp_le_i32_e32 vcc_lo, v22, v28
	v_cmp_ge_i32_e64 s1, v22, v28
	v_add_co_ci_u32_e64 v5, null, 0, v5, vcc_lo
	v_add_co_ci_u32_e64 v16, null, 0, v16, s1
	s_andn2_b32 s1, s44, exec_lo
	v_cmp_ge_i32_e32 vcc_lo, v5, v23
	s_and_b32 s44, vcc_lo, exec_lo
	s_or_b32 s44, s1, s44
.LBB21_13:                              ;   in Loop: Header=BB21_14 Depth=3
	s_or_b32 exec_lo, exec_lo, s45
	s_and_b32 s1, exec_lo, s44
	s_or_b32 s43, s1, s43
	s_andn2_b32 exec_lo, exec_lo, s43
	s_cbranch_execz .LBB21_17
.LBB21_14:                              ;   Parent Loop BB21_6 Depth=1
                                        ;     Parent Loop BB21_10 Depth=2
                                        ; =>    This Inner Loop Header: Depth=3
	s_or_b32 s44, s44, exec_lo
	s_mov_b32 s45, exec_lo
	v_cmpx_lt_i32_e64 v16, v27
	s_cbranch_execz .LBB21_13
; %bb.15:                               ;   in Loop: Header=BB21_14 Depth=3
	v_mov_b32_e32 v17, v6
	v_lshlrev_b64 v[28:29], 2, v[5:6]
	s_mov_b32 s1, exec_lo
	v_lshlrev_b64 v[30:31], 2, v[16:17]
	v_add_co_u32 v28, vcc_lo, v8, v28
	v_add_co_ci_u32_e64 v29, null, v24, v29, vcc_lo
	v_add_co_u32 v30, vcc_lo, v18, v30
	v_add_co_ci_u32_e64 v31, null, v19, v31, vcc_lo
	global_load_dword v22, v[28:29], off
	global_load_dword v28, v[30:31], off
	s_waitcnt vmcnt(1)
	v_subrev_nc_u32_e32 v22, s37, v22
	s_waitcnt vmcnt(0)
	v_subrev_nc_u32_e32 v28, s38, v28
	v_cmpx_eq_u32_e64 v22, v28
	s_cbranch_execz .LBB21_12
; %bb.16:                               ;   in Loop: Header=BB21_14 Depth=3
	v_lshlrev_b64 v[29:30], 3, v[5:6]
	v_lshlrev_b64 v[31:32], 3, v[16:17]
	v_add_co_u32 v29, vcc_lo, v25, v29
	v_add_co_ci_u32_e64 v30, null, v26, v30, vcc_lo
	v_add_co_u32 v31, vcc_lo, v20, v31
	v_add_co_ci_u32_e64 v32, null, v21, v32, vcc_lo
	global_load_dwordx2 v[29:30], v[29:30], off
	global_load_dwordx2 v[31:32], v[31:32], off
	s_waitcnt vmcnt(0)
	v_fma_f64 v[11:12], v[29:30], v[31:32], v[11:12]
	s_branch .LBB21_12
.LBB21_17:                              ;   in Loop: Header=BB21_10 Depth=2
	s_or_b32 exec_lo, exec_lo, s43
.LBB21_18:                              ;   in Loop: Header=BB21_10 Depth=2
	s_or_b32 exec_lo, exec_lo, s2
	v_lshlrev_b64 v[17:18], 3, v[9:10]
	v_cmp_le_i32_e64 s1, v1, v13
	s_mov_b32 s2, exec_lo
	v_add_co_u32 v17, vcc_lo, s30, v17
	v_add_co_ci_u32_e64 v18, null, s31, v18, vcc_lo
	global_load_dwordx2 v[17:18], v[17:18], off
	s_waitcnt vmcnt(0)
	v_add_f64 v[19:20], v[17:18], -v[11:12]
	v_cmpx_gt_i32_e64 v1, v13
	s_cbranch_execz .LBB21_20
; %bb.19:                               ;   in Loop: Header=BB21_10 Depth=2
	v_lshlrev_b64 v[21:22], 3, v[13:14]
	v_add_co_u32 v21, vcc_lo, s6, v21
	v_add_co_ci_u32_e64 v22, null, s7, v22, vcc_lo
	global_load_dwordx2 v[21:22], v[21:22], off
	s_waitcnt vmcnt(0)
	v_div_scale_f64 v[28:29], null, v[21:22], v[21:22], v[19:20]
	v_rcp_f64_e32 v[30:31], v[28:29]
	v_fma_f64 v[32:33], -v[28:29], v[30:31], 1.0
	v_fma_f64 v[30:31], v[30:31], v[32:33], v[30:31]
	v_fma_f64 v[32:33], -v[28:29], v[30:31], 1.0
	v_fma_f64 v[30:31], v[30:31], v[32:33], v[30:31]
	v_div_scale_f64 v[32:33], vcc_lo, v[19:20], v[21:22], v[19:20]
	v_mul_f64 v[34:35], v[32:33], v[30:31]
	v_fma_f64 v[28:29], -v[28:29], v[34:35], v[32:33]
	v_div_fmas_f64 v[28:29], v[28:29], v[30:31], v[34:35]
	v_div_fixup_f64 v[19:20], v[28:29], v[21:22], v[19:20]
.LBB21_20:                              ;   in Loop: Header=BB21_10 Depth=2
	s_or_b32 exec_lo, exec_lo, s2
	s_mov_b32 s43, exec_lo
	v_cmp_lt_i32_e32 vcc_lo, v16, v27
	v_cmpx_ge_i32_e64 v16, v27
	s_xor_b32 s43, exec_lo, s43
	s_cbranch_execnz .LBB21_24
; %bb.21:                               ;   in Loop: Header=BB21_10 Depth=2
	s_andn2_saveexec_b32 s43, s43
	s_cbranch_execnz .LBB21_33
.LBB21_22:                              ;   in Loop: Header=BB21_10 Depth=2
	s_or_b32 exec_lo, exec_lo, s43
	s_mov_b32 s43, exec_lo
	v_cmpx_eq_u32_e64 v1, v13
	s_cbranch_execnz .LBB21_40
.LBB21_23:                              ;   in Loop: Header=BB21_10 Depth=2
	s_or_b32 exec_lo, exec_lo, s43
	v_cmp_class_f64_e64 s43, v[19:20], 0x1f8
	s_and_saveexec_b32 s2, s43
	s_cbranch_execz .LBB21_9
	s_branch .LBB21_41
.LBB21_24:                              ;   in Loop: Header=BB21_10 Depth=2
	s_mov_b32 s44, exec_lo
	v_cmpx_lt_i32_e64 v5, v23
	s_cbranch_execz .LBB21_32
; %bb.25:                               ;   in Loop: Header=BB21_10 Depth=2
	v_mov_b32_e32 v10, v5
	s_mov_b32 s45, 0
                                        ; implicit-def: $sgpr46
                                        ; implicit-def: $sgpr48
                                        ; implicit-def: $sgpr47
	s_inst_prefetch 0x1
	s_branch .LBB21_27
	.p2align	6
.LBB21_26:                              ;   in Loop: Header=BB21_27 Depth=3
	s_or_b32 exec_lo, exec_lo, s49
	s_and_b32 s2, exec_lo, s48
	s_or_b32 s45, s2, s45
	s_andn2_b32 s2, s46, exec_lo
	s_and_b32 s46, s47, exec_lo
	s_or_b32 s46, s2, s46
	s_andn2_b32 exec_lo, exec_lo, s45
	s_cbranch_execz .LBB21_29
.LBB21_27:                              ;   Parent Loop BB21_6 Depth=1
                                        ;     Parent Loop BB21_10 Depth=2
                                        ; =>    This Inner Loop Header: Depth=3
	v_add_nc_u32_e32 v21, v7, v10
	s_or_b32 s47, s47, exec_lo
	s_or_b32 s48, s48, exec_lo
	s_mov_b32 s49, exec_lo
	v_ashrrev_i32_e32 v22, 31, v21
	v_lshlrev_b64 v[28:29], 2, v[21:22]
	v_add_co_u32 v28, s2, s20, v28
	v_add_co_ci_u32_e64 v29, null, s21, v29, s2
	global_load_dword v28, v[28:29], off
	s_waitcnt vmcnt(0)
	v_subrev_nc_u32_e32 v28, s37, v28
	v_cmpx_ne_u32_e64 v28, v13
	s_cbranch_execz .LBB21_26
; %bb.28:                               ;   in Loop: Header=BB21_27 Depth=3
	v_add_nc_u32_e32 v10, 1, v10
	s_andn2_b32 s48, s48, exec_lo
	s_andn2_b32 s47, s47, exec_lo
	v_cmp_ge_i32_e64 s2, v10, v23
	s_and_b32 s2, s2, exec_lo
	s_or_b32 s48, s48, s2
	s_branch .LBB21_26
.LBB21_29:                              ;   in Loop: Header=BB21_10 Depth=2
	s_inst_prefetch 0x2
	s_or_b32 exec_lo, exec_lo, s45
	s_and_saveexec_b32 s2, s46
	s_xor_b32 s45, exec_lo, s2
	s_cbranch_execz .LBB21_31
; %bb.30:                               ;   in Loop: Header=BB21_10 Depth=2
	v_lshlrev_b64 v[21:22], 3, v[21:22]
	v_lshlrev_b64 v[28:29], 3, v[13:14]
	v_add_co_u32 v21, s2, s22, v21
	v_add_co_ci_u32_e64 v22, null, s23, v22, s2
	v_add_co_u32 v28, s2, s6, v28
	v_add_co_ci_u32_e64 v29, null, s7, v29, s2
	global_load_dwordx2 v[21:22], v[21:22], off
	global_load_dwordx2 v[28:29], v[28:29], off
	s_waitcnt vmcnt(0)
	v_fma_f64 v[11:12], v[21:22], v[28:29], v[11:12]
.LBB21_31:                              ;   in Loop: Header=BB21_10 Depth=2
	s_or_b32 exec_lo, exec_lo, s45
.LBB21_32:                              ;   in Loop: Header=BB21_10 Depth=2
	s_or_b32 exec_lo, exec_lo, s44
	s_andn2_saveexec_b32 s43, s43
	s_cbranch_execz .LBB21_22
.LBB21_33:                              ;   in Loop: Header=BB21_10 Depth=2
	v_mov_b32_e32 v10, v16
	s_mov_b32 s44, 0
                                        ; implicit-def: $sgpr45
                                        ; implicit-def: $sgpr47
                                        ; implicit-def: $sgpr46
	s_inst_prefetch 0x1
	s_branch .LBB21_35
	.p2align	6
.LBB21_34:                              ;   in Loop: Header=BB21_35 Depth=3
	s_or_b32 exec_lo, exec_lo, s48
	s_and_b32 s2, exec_lo, s47
	s_or_b32 s44, s2, s44
	s_andn2_b32 s2, s45, exec_lo
	s_and_b32 s45, s46, exec_lo
	s_or_b32 s45, s2, s45
	s_andn2_b32 exec_lo, exec_lo, s44
	s_cbranch_execz .LBB21_37
.LBB21_35:                              ;   Parent Loop BB21_6 Depth=1
                                        ;     Parent Loop BB21_10 Depth=2
                                        ; =>    This Inner Loop Header: Depth=3
	v_add_nc_u32_e32 v21, v15, v10
	s_or_b32 s46, s46, exec_lo
	s_or_b32 s47, s47, exec_lo
	s_mov_b32 s48, exec_lo
	v_ashrrev_i32_e32 v22, 31, v21
	v_lshlrev_b64 v[28:29], 2, v[21:22]
	v_add_co_u32 v28, s2, s12, v28
	v_add_co_ci_u32_e64 v29, null, s13, v29, s2
	global_load_dword v28, v[28:29], off
	s_waitcnt vmcnt(0)
	v_subrev_nc_u32_e32 v28, s38, v28
	v_cmpx_ne_u32_e64 v28, v1
	s_cbranch_execz .LBB21_34
; %bb.36:                               ;   in Loop: Header=BB21_35 Depth=3
	v_add_nc_u32_e32 v10, 1, v10
	s_andn2_b32 s47, s47, exec_lo
	s_andn2_b32 s46, s46, exec_lo
	v_cmp_ge_i32_e64 s2, v10, v27
	s_and_b32 s2, s2, exec_lo
	s_or_b32 s47, s47, s2
	s_branch .LBB21_34
.LBB21_37:                              ;   in Loop: Header=BB21_10 Depth=2
	s_inst_prefetch 0x2
	s_or_b32 exec_lo, exec_lo, s44
	s_and_saveexec_b32 s2, s45
	s_xor_b32 s44, exec_lo, s2
	s_cbranch_execz .LBB21_39
; %bb.38:                               ;   in Loop: Header=BB21_10 Depth=2
	v_lshlrev_b64 v[21:22], 3, v[21:22]
	v_add_co_u32 v21, s2, s14, v21
	v_add_co_ci_u32_e64 v22, null, s15, v22, s2
	global_load_dwordx2 v[21:22], v[21:22], off
	s_waitcnt vmcnt(0)
	v_add_f64 v[11:12], v[11:12], v[21:22]
.LBB21_39:                              ;   in Loop: Header=BB21_10 Depth=2
	s_or_b32 exec_lo, exec_lo, s44
	s_or_b32 exec_lo, exec_lo, s43
	s_mov_b32 s43, exec_lo
	v_cmpx_eq_u32_e64 v1, v13
	s_cbranch_execz .LBB21_23
.LBB21_40:                              ;   in Loop: Header=BB21_10 Depth=2
	v_lshlrev_b64 v[21:22], 3, v[13:14]
	v_add_co_u32 v21, s2, s6, v21
	v_add_co_ci_u32_e64 v22, null, s7, v22, s2
	global_load_dwordx2 v[21:22], v[21:22], off
	s_waitcnt vmcnt(0)
	v_add_f64 v[11:12], v[11:12], v[21:22]
	s_or_b32 exec_lo, exec_lo, s43
	v_cmp_class_f64_e64 s43, v[19:20], 0x1f8
	s_and_saveexec_b32 s2, s43
	s_cbranch_execz .LBB21_9
.LBB21_41:                              ;   in Loop: Header=BB21_10 Depth=2
	s_and_saveexec_b32 s43, s1
	s_xor_b32 s43, exec_lo, s43
	s_cbranch_execz .LBB21_54
; %bb.42:                               ;   in Loop: Header=BB21_10 Depth=2
	s_mov_b32 s44, exec_lo
	v_cmpx_ge_i32_e64 v1, v13
	s_xor_b32 s44, exec_lo, s44
	s_cbranch_execz .LBB21_44
; %bb.43:                               ;   in Loop: Header=BB21_10 Depth=2
	v_lshlrev_b64 v[13:14], 3, v[13:14]
                                        ; implicit-def: $vgpr16
                                        ; implicit-def: $vgpr15
                                        ; implicit-def: $vgpr27
	v_add_co_u32 v13, s1, s6, v13
	v_add_co_ci_u32_e64 v14, null, s7, v14, s1
	global_store_dwordx2 v[13:14], v[19:20], off
                                        ; implicit-def: $vgpr19_vgpr20
.LBB21_44:                              ;   in Loop: Header=BB21_10 Depth=2
	s_andn2_saveexec_b32 s1, s44
	s_cbranch_execz .LBB21_53
; %bb.45:                               ;   in Loop: Header=BB21_10 Depth=2
	s_and_saveexec_b32 s44, vcc_lo
	s_cbranch_execz .LBB21_52
; %bb.46:                               ;   in Loop: Header=BB21_10 Depth=2
	s_mov_b32 s45, 0
                                        ; implicit-def: $sgpr46
                                        ; implicit-def: $sgpr48
                                        ; implicit-def: $sgpr47
	s_inst_prefetch 0x1
	s_branch .LBB21_48
	.p2align	6
.LBB21_47:                              ;   in Loop: Header=BB21_48 Depth=3
	s_or_b32 exec_lo, exec_lo, s49
	s_and_b32 s49, exec_lo, s48
	s_or_b32 s45, s49, s45
	s_andn2_b32 s46, s46, exec_lo
	s_and_b32 s49, s47, exec_lo
	s_or_b32 s46, s46, s49
	s_andn2_b32 exec_lo, exec_lo, s45
	s_cbranch_execz .LBB21_50
.LBB21_48:                              ;   Parent Loop BB21_6 Depth=1
                                        ;     Parent Loop BB21_10 Depth=2
                                        ; =>    This Inner Loop Header: Depth=3
	v_add_nc_u32_e32 v13, v15, v16
	s_or_b32 s47, s47, exec_lo
	s_or_b32 s48, s48, exec_lo
	s_mov_b32 s49, exec_lo
	v_ashrrev_i32_e32 v14, 31, v13
	v_lshlrev_b64 v[21:22], 2, v[13:14]
	v_add_co_u32 v21, vcc_lo, s12, v21
	v_add_co_ci_u32_e64 v22, null, s13, v22, vcc_lo
	global_load_dword v5, v[21:22], off
	s_waitcnt vmcnt(0)
	v_subrev_nc_u32_e32 v5, s38, v5
	v_cmpx_ne_u32_e64 v5, v1
	s_cbranch_execz .LBB21_47
; %bb.49:                               ;   in Loop: Header=BB21_48 Depth=3
	v_add_nc_u32_e32 v16, 1, v16
	s_andn2_b32 s48, s48, exec_lo
	s_andn2_b32 s47, s47, exec_lo
	v_cmp_ge_i32_e32 vcc_lo, v16, v27
	s_and_b32 s50, vcc_lo, exec_lo
	s_or_b32 s48, s48, s50
	s_branch .LBB21_47
.LBB21_50:                              ;   in Loop: Header=BB21_10 Depth=2
	s_inst_prefetch 0x2
	s_or_b32 exec_lo, exec_lo, s45
	s_and_saveexec_b32 s45, s46
	s_xor_b32 s45, exec_lo, s45
	s_cbranch_execz .LBB21_52
; %bb.51:                               ;   in Loop: Header=BB21_10 Depth=2
	v_lshlrev_b64 v[13:14], 3, v[13:14]
	v_add_co_u32 v13, vcc_lo, s14, v13
	v_add_co_ci_u32_e64 v14, null, s15, v14, vcc_lo
	global_store_dwordx2 v[13:14], v[19:20], off
.LBB21_52:                              ;   in Loop: Header=BB21_10 Depth=2
	s_or_b32 exec_lo, exec_lo, s44
.LBB21_53:                              ;   in Loop: Header=BB21_10 Depth=2
	s_or_b32 exec_lo, exec_lo, s1
                                        ; implicit-def: $vgpr19_vgpr20
                                        ; implicit-def: $vgpr13_vgpr14
.LBB21_54:                              ;   in Loop: Header=BB21_10 Depth=2
	s_andn2_saveexec_b32 s1, s43
	s_cbranch_execz .LBB21_9
; %bb.55:                               ;   in Loop: Header=BB21_10 Depth=2
	v_cmp_lt_i32_e32 vcc_lo, v5, v23
	s_and_b32 exec_lo, exec_lo, vcc_lo
	s_cbranch_execz .LBB21_9
; %bb.56:                               ;   in Loop: Header=BB21_10 Depth=2
	s_mov_b32 s1, 0
                                        ; implicit-def: $sgpr43
                                        ; implicit-def: $sgpr45
                                        ; implicit-def: $sgpr44
	s_inst_prefetch 0x1
	s_branch .LBB21_58
	.p2align	6
.LBB21_57:                              ;   in Loop: Header=BB21_58 Depth=3
	s_or_b32 exec_lo, exec_lo, s46
	s_and_b32 s46, exec_lo, s45
	s_or_b32 s1, s46, s1
	s_andn2_b32 s43, s43, exec_lo
	s_and_b32 s46, s44, exec_lo
	s_or_b32 s43, s43, s46
	s_andn2_b32 exec_lo, exec_lo, s1
	s_cbranch_execz .LBB21_60
.LBB21_58:                              ;   Parent Loop BB21_6 Depth=1
                                        ;     Parent Loop BB21_10 Depth=2
                                        ; =>    This Inner Loop Header: Depth=3
	v_add_nc_u32_e32 v14, v7, v5
	s_or_b32 s44, s44, exec_lo
	s_or_b32 s45, s45, exec_lo
	s_mov_b32 s46, exec_lo
	v_ashrrev_i32_e32 v15, 31, v14
	v_lshlrev_b64 v[21:22], 2, v[14:15]
	v_add_co_u32 v21, vcc_lo, s20, v21
	v_add_co_ci_u32_e64 v22, null, s21, v22, vcc_lo
	global_load_dword v10, v[21:22], off
	s_waitcnt vmcnt(0)
	v_subrev_nc_u32_e32 v10, s37, v10
	v_cmpx_ne_u32_e64 v10, v13
	s_cbranch_execz .LBB21_57
; %bb.59:                               ;   in Loop: Header=BB21_58 Depth=3
	v_add_nc_u32_e32 v5, 1, v5
	s_andn2_b32 s45, s45, exec_lo
	s_andn2_b32 s44, s44, exec_lo
	v_cmp_ge_i32_e32 vcc_lo, v5, v23
	s_and_b32 s47, vcc_lo, exec_lo
	s_or_b32 s45, s45, s47
	s_branch .LBB21_57
.LBB21_60:                              ;   in Loop: Header=BB21_10 Depth=2
	s_inst_prefetch 0x2
	s_or_b32 exec_lo, exec_lo, s1
	s_and_saveexec_b32 s1, s43
	s_xor_b32 s1, exec_lo, s1
	s_cbranch_execz .LBB21_9
; %bb.61:                               ;   in Loop: Header=BB21_10 Depth=2
	v_lshlrev_b64 v[13:14], 3, v[14:15]
	v_add_co_u32 v13, vcc_lo, s22, v13
	v_add_co_ci_u32_e64 v14, null, s23, v14, vcc_lo
	global_store_dwordx2 v[13:14], v[19:20], off
	s_branch .LBB21_9
.LBB21_62:
	s_or_b32 exec_lo, exec_lo, s39
.LBB21_63:
	s_or_b32 exec_lo, exec_lo, s34
.LBB21_64:
	s_or_b32 exec_lo, exec_lo, s3
	v_lshlrev_b32_e32 v1, 3, v0
	s_mov_b32 s0, exec_lo
	ds_write_b64 v1, v[3:4]
	s_waitcnt lgkmcnt(0)
	s_waitcnt_vscnt null, 0x0
	s_barrier
	buffer_gl0_inv
	v_cmpx_gt_u32_e32 0x200, v0
	s_cbranch_execz .LBB21_66
; %bb.65:
	ds_read2st64_b64 v[2:5], v1 offset1:8
	s_waitcnt lgkmcnt(0)
	v_cmp_lt_f64_e32 vcc_lo, v[2:3], v[4:5]
	v_cndmask_b32_e32 v3, v3, v5, vcc_lo
	v_cndmask_b32_e32 v2, v2, v4, vcc_lo
	ds_write_b64 v1, v[2:3]
.LBB21_66:
	s_or_b32 exec_lo, exec_lo, s0
	s_mov_b32 s0, exec_lo
	s_waitcnt lgkmcnt(0)
	s_barrier
	buffer_gl0_inv
	v_cmpx_gt_u32_e32 0x100, v0
	s_cbranch_execz .LBB21_68
; %bb.67:
	ds_read2st64_b64 v[2:5], v1 offset1:4
	s_waitcnt lgkmcnt(0)
	v_cmp_lt_f64_e32 vcc_lo, v[2:3], v[4:5]
	v_cndmask_b32_e32 v3, v3, v5, vcc_lo
	v_cndmask_b32_e32 v2, v2, v4, vcc_lo
	ds_write_b64 v1, v[2:3]
.LBB21_68:
	s_or_b32 exec_lo, exec_lo, s0
	s_mov_b32 s0, exec_lo
	s_waitcnt lgkmcnt(0)
	;; [unrolled: 15-line block ×4, first 2 shown]
	s_barrier
	buffer_gl0_inv
	v_cmpx_gt_u32_e32 32, v0
	s_cbranch_execz .LBB21_74
; %bb.73:
	ds_read2_b64 v[2:5], v1 offset1:32
	s_waitcnt lgkmcnt(0)
	v_cmp_lt_f64_e32 vcc_lo, v[2:3], v[4:5]
	v_cndmask_b32_e32 v3, v3, v5, vcc_lo
	v_cndmask_b32_e32 v2, v2, v4, vcc_lo
	ds_write_b64 v1, v[2:3]
.LBB21_74:
	s_or_b32 exec_lo, exec_lo, s0
	s_mov_b32 s0, exec_lo
	s_waitcnt lgkmcnt(0)
	s_barrier
	buffer_gl0_inv
	v_cmpx_gt_u32_e32 16, v0
	s_cbranch_execz .LBB21_76
; %bb.75:
	ds_read2_b64 v[2:5], v1 offset1:16
	s_waitcnt lgkmcnt(0)
	v_cmp_lt_f64_e32 vcc_lo, v[2:3], v[4:5]
	v_cndmask_b32_e32 v3, v3, v5, vcc_lo
	v_cndmask_b32_e32 v2, v2, v4, vcc_lo
	ds_write_b64 v1, v[2:3]
.LBB21_76:
	s_or_b32 exec_lo, exec_lo, s0
	s_mov_b32 s0, exec_lo
	s_waitcnt lgkmcnt(0)
	;; [unrolled: 15-line block ×4, first 2 shown]
	s_barrier
	buffer_gl0_inv
	v_cmpx_gt_u32_e32 2, v0
	s_cbranch_execz .LBB21_82
; %bb.81:
	ds_read2_b64 v[2:5], v1 offset1:2
	s_waitcnt lgkmcnt(0)
	v_cmp_lt_f64_e32 vcc_lo, v[2:3], v[4:5]
	v_cndmask_b32_e32 v3, v3, v5, vcc_lo
	v_cndmask_b32_e32 v2, v2, v4, vcc_lo
	ds_write_b64 v1, v[2:3]
.LBB21_82:
	s_or_b32 exec_lo, exec_lo, s0
	v_cmp_eq_u32_e32 vcc_lo, 0, v0
	s_waitcnt lgkmcnt(0)
	s_barrier
	buffer_gl0_inv
	s_and_saveexec_b32 s1, vcc_lo
	s_cbranch_execz .LBB21_84
; %bb.83:
	v_mov_b32_e32 v4, 0
	ds_read_b128 v[0:3], v4
	s_waitcnt lgkmcnt(0)
	v_cmp_lt_f64_e64 s0, v[0:1], v[2:3]
	v_cndmask_b32_e64 v1, v1, v3, s0
	v_cndmask_b32_e64 v0, v0, v2, s0
	ds_write_b64 v4, v[0:1]
.LBB21_84:
	s_or_b32 exec_lo, exec_lo, s1
	s_waitcnt lgkmcnt(0)
	s_barrier
	buffer_gl0_inv
	s_and_saveexec_b32 s0, vcc_lo
	s_cbranch_execz .LBB21_88
; %bb.85:
	v_mbcnt_lo_u32_b32 v0, exec_lo, 0
	s_mov_b32 s6, 0
	v_cmp_eq_u32_e32 vcc_lo, 0, v0
	s_and_b32 exec_lo, exec_lo, vcc_lo
	s_cbranch_execz .LBB21_88
; %bb.86:
	s_load_dwordx4 s[0:3], s[4:5], 0x88
	v_mov_b32_e32 v6, 0
	ds_read_b64 v[0:1], v6
	s_waitcnt lgkmcnt(0)
	s_load_dwordx2 s[2:3], s[2:3], 0x0
	s_waitcnt lgkmcnt(0)
	v_div_scale_f64 v[2:3], null, s[2:3], s[2:3], v[0:1]
	v_rcp_f64_e32 v[4:5], v[2:3]
	v_fma_f64 v[7:8], -v[2:3], v[4:5], 1.0
	v_fma_f64 v[4:5], v[4:5], v[7:8], v[4:5]
	v_fma_f64 v[7:8], -v[2:3], v[4:5], 1.0
	v_fma_f64 v[4:5], v[4:5], v[7:8], v[4:5]
	v_div_scale_f64 v[7:8], vcc_lo, v[0:1], s[2:3], v[0:1]
	v_mul_f64 v[9:10], v[7:8], v[4:5]
	v_fma_f64 v[2:3], -v[2:3], v[9:10], v[7:8]
	v_div_fmas_f64 v[2:3], v[2:3], v[4:5], v[9:10]
	v_div_fixup_f64 v[0:1], v[2:3], s[2:3], v[0:1]
	s_load_dwordx2 s[2:3], s[0:1], 0x0
	s_waitcnt lgkmcnt(0)
	v_mov_b32_e32 v2, s2
	v_max_f64 v[4:5], v[0:1], v[0:1]
	v_mov_b32_e32 v3, s3
.LBB21_87:                              ; =>This Inner Loop Header: Depth=1
	v_max_f64 v[0:1], v[2:3], v[2:3]
	v_max_f64 v[0:1], v[0:1], v[4:5]
	global_atomic_cmpswap_x2 v[0:1], v6, v[0:3], s[0:1] glc
	s_waitcnt vmcnt(0)
	v_cmp_eq_u64_e32 vcc_lo, v[0:1], v[2:3]
	v_mov_b32_e32 v3, v1
	v_mov_b32_e32 v2, v0
	s_or_b32 s6, vcc_lo, s6
	s_andn2_b32 exec_lo, exec_lo, s6
	s_cbranch_execnz .LBB21_87
.LBB21_88:
	s_endpgm
	.section	.rodata,"a",@progbits
	.p2align	6, 0x0
	.amdhsa_kernel _ZN9rocsparseL17kernel_correctionILi1024ELi1EdiiEEvT3_T2_PKS2_S4_PKS1_PKT1_21rocsparse_index_base_S4_S4_S6_PS7_SA_S4_S4_S6_SB_SA_SB_PNS_15floating_traitsIS7_E6data_tEPKSE_
		.amdhsa_group_segment_fixed_size 8192
		.amdhsa_private_segment_fixed_size 0
		.amdhsa_kernarg_size 152
		.amdhsa_user_sgpr_count 6
		.amdhsa_user_sgpr_private_segment_buffer 1
		.amdhsa_user_sgpr_dispatch_ptr 0
		.amdhsa_user_sgpr_queue_ptr 0
		.amdhsa_user_sgpr_kernarg_segment_ptr 1
		.amdhsa_user_sgpr_dispatch_id 0
		.amdhsa_user_sgpr_flat_scratch_init 0
		.amdhsa_user_sgpr_private_segment_size 0
		.amdhsa_wavefront_size32 1
		.amdhsa_uses_dynamic_stack 0
		.amdhsa_system_sgpr_private_segment_wavefront_offset 0
		.amdhsa_system_sgpr_workgroup_id_x 1
		.amdhsa_system_sgpr_workgroup_id_y 0
		.amdhsa_system_sgpr_workgroup_id_z 0
		.amdhsa_system_sgpr_workgroup_info 0
		.amdhsa_system_vgpr_workitem_id 0
		.amdhsa_next_free_vgpr 36
		.amdhsa_next_free_sgpr 51
		.amdhsa_reserve_vcc 1
		.amdhsa_reserve_flat_scratch 0
		.amdhsa_float_round_mode_32 0
		.amdhsa_float_round_mode_16_64 0
		.amdhsa_float_denorm_mode_32 3
		.amdhsa_float_denorm_mode_16_64 3
		.amdhsa_dx10_clamp 1
		.amdhsa_ieee_mode 1
		.amdhsa_fp16_overflow 0
		.amdhsa_workgroup_processor_mode 1
		.amdhsa_memory_ordered 1
		.amdhsa_forward_progress 1
		.amdhsa_shared_vgpr_count 0
		.amdhsa_exception_fp_ieee_invalid_op 0
		.amdhsa_exception_fp_denorm_src 0
		.amdhsa_exception_fp_ieee_div_zero 0
		.amdhsa_exception_fp_ieee_overflow 0
		.amdhsa_exception_fp_ieee_underflow 0
		.amdhsa_exception_fp_ieee_inexact 0
		.amdhsa_exception_int_div_zero 0
	.end_amdhsa_kernel
	.section	.text._ZN9rocsparseL17kernel_correctionILi1024ELi1EdiiEEvT3_T2_PKS2_S4_PKS1_PKT1_21rocsparse_index_base_S4_S4_S6_PS7_SA_S4_S4_S6_SB_SA_SB_PNS_15floating_traitsIS7_E6data_tEPKSE_,"axG",@progbits,_ZN9rocsparseL17kernel_correctionILi1024ELi1EdiiEEvT3_T2_PKS2_S4_PKS1_PKT1_21rocsparse_index_base_S4_S4_S6_PS7_SA_S4_S4_S6_SB_SA_SB_PNS_15floating_traitsIS7_E6data_tEPKSE_,comdat
.Lfunc_end21:
	.size	_ZN9rocsparseL17kernel_correctionILi1024ELi1EdiiEEvT3_T2_PKS2_S4_PKS1_PKT1_21rocsparse_index_base_S4_S4_S6_PS7_SA_S4_S4_S6_SB_SA_SB_PNS_15floating_traitsIS7_E6data_tEPKSE_, .Lfunc_end21-_ZN9rocsparseL17kernel_correctionILi1024ELi1EdiiEEvT3_T2_PKS2_S4_PKS1_PKT1_21rocsparse_index_base_S4_S4_S6_PS7_SA_S4_S4_S6_SB_SA_SB_PNS_15floating_traitsIS7_E6data_tEPKSE_
                                        ; -- End function
	.set _ZN9rocsparseL17kernel_correctionILi1024ELi1EdiiEEvT3_T2_PKS2_S4_PKS1_PKT1_21rocsparse_index_base_S4_S4_S6_PS7_SA_S4_S4_S6_SB_SA_SB_PNS_15floating_traitsIS7_E6data_tEPKSE_.num_vgpr, 36
	.set _ZN9rocsparseL17kernel_correctionILi1024ELi1EdiiEEvT3_T2_PKS2_S4_PKS1_PKT1_21rocsparse_index_base_S4_S4_S6_PS7_SA_S4_S4_S6_SB_SA_SB_PNS_15floating_traitsIS7_E6data_tEPKSE_.num_agpr, 0
	.set _ZN9rocsparseL17kernel_correctionILi1024ELi1EdiiEEvT3_T2_PKS2_S4_PKS1_PKT1_21rocsparse_index_base_S4_S4_S6_PS7_SA_S4_S4_S6_SB_SA_SB_PNS_15floating_traitsIS7_E6data_tEPKSE_.numbered_sgpr, 51
	.set _ZN9rocsparseL17kernel_correctionILi1024ELi1EdiiEEvT3_T2_PKS2_S4_PKS1_PKT1_21rocsparse_index_base_S4_S4_S6_PS7_SA_S4_S4_S6_SB_SA_SB_PNS_15floating_traitsIS7_E6data_tEPKSE_.num_named_barrier, 0
	.set _ZN9rocsparseL17kernel_correctionILi1024ELi1EdiiEEvT3_T2_PKS2_S4_PKS1_PKT1_21rocsparse_index_base_S4_S4_S6_PS7_SA_S4_S4_S6_SB_SA_SB_PNS_15floating_traitsIS7_E6data_tEPKSE_.private_seg_size, 0
	.set _ZN9rocsparseL17kernel_correctionILi1024ELi1EdiiEEvT3_T2_PKS2_S4_PKS1_PKT1_21rocsparse_index_base_S4_S4_S6_PS7_SA_S4_S4_S6_SB_SA_SB_PNS_15floating_traitsIS7_E6data_tEPKSE_.uses_vcc, 1
	.set _ZN9rocsparseL17kernel_correctionILi1024ELi1EdiiEEvT3_T2_PKS2_S4_PKS1_PKT1_21rocsparse_index_base_S4_S4_S6_PS7_SA_S4_S4_S6_SB_SA_SB_PNS_15floating_traitsIS7_E6data_tEPKSE_.uses_flat_scratch, 0
	.set _ZN9rocsparseL17kernel_correctionILi1024ELi1EdiiEEvT3_T2_PKS2_S4_PKS1_PKT1_21rocsparse_index_base_S4_S4_S6_PS7_SA_S4_S4_S6_SB_SA_SB_PNS_15floating_traitsIS7_E6data_tEPKSE_.has_dyn_sized_stack, 0
	.set _ZN9rocsparseL17kernel_correctionILi1024ELi1EdiiEEvT3_T2_PKS2_S4_PKS1_PKT1_21rocsparse_index_base_S4_S4_S6_PS7_SA_S4_S4_S6_SB_SA_SB_PNS_15floating_traitsIS7_E6data_tEPKSE_.has_recursion, 0
	.set _ZN9rocsparseL17kernel_correctionILi1024ELi1EdiiEEvT3_T2_PKS2_S4_PKS1_PKT1_21rocsparse_index_base_S4_S4_S6_PS7_SA_S4_S4_S6_SB_SA_SB_PNS_15floating_traitsIS7_E6data_tEPKSE_.has_indirect_call, 0
	.section	.AMDGPU.csdata,"",@progbits
; Kernel info:
; codeLenInByte = 3440
; TotalNumSgprs: 53
; NumVgprs: 36
; ScratchSize: 0
; MemoryBound: 1
; FloatMode: 240
; IeeeMode: 1
; LDSByteSize: 8192 bytes/workgroup (compile time only)
; SGPRBlocks: 0
; VGPRBlocks: 4
; NumSGPRsForWavesPerEU: 53
; NumVGPRsForWavesPerEU: 36
; Occupancy: 16
; WaveLimiterHint : 1
; COMPUTE_PGM_RSRC2:SCRATCH_EN: 0
; COMPUTE_PGM_RSRC2:USER_SGPR: 6
; COMPUTE_PGM_RSRC2:TRAP_HANDLER: 0
; COMPUTE_PGM_RSRC2:TGID_X_EN: 1
; COMPUTE_PGM_RSRC2:TGID_Y_EN: 0
; COMPUTE_PGM_RSRC2:TGID_Z_EN: 0
; COMPUTE_PGM_RSRC2:TIDIG_COMP_CNT: 0
	.section	.text._ZN9rocsparseL17kernel_correctionILi1024ELi2EdiiEEvT3_T2_PKS2_S4_PKS1_PKT1_21rocsparse_index_base_S4_S4_S6_PS7_SA_S4_S4_S6_SB_SA_SB_PNS_15floating_traitsIS7_E6data_tEPKSE_,"axG",@progbits,_ZN9rocsparseL17kernel_correctionILi1024ELi2EdiiEEvT3_T2_PKS2_S4_PKS1_PKT1_21rocsparse_index_base_S4_S4_S6_PS7_SA_S4_S4_S6_SB_SA_SB_PNS_15floating_traitsIS7_E6data_tEPKSE_,comdat
	.globl	_ZN9rocsparseL17kernel_correctionILi1024ELi2EdiiEEvT3_T2_PKS2_S4_PKS1_PKT1_21rocsparse_index_base_S4_S4_S6_PS7_SA_S4_S4_S6_SB_SA_SB_PNS_15floating_traitsIS7_E6data_tEPKSE_ ; -- Begin function _ZN9rocsparseL17kernel_correctionILi1024ELi2EdiiEEvT3_T2_PKS2_S4_PKS1_PKT1_21rocsparse_index_base_S4_S4_S6_PS7_SA_S4_S4_S6_SB_SA_SB_PNS_15floating_traitsIS7_E6data_tEPKSE_
	.p2align	8
	.type	_ZN9rocsparseL17kernel_correctionILi1024ELi2EdiiEEvT3_T2_PKS2_S4_PKS1_PKT1_21rocsparse_index_base_S4_S4_S6_PS7_SA_S4_S4_S6_SB_SA_SB_PNS_15floating_traitsIS7_E6data_tEPKSE_,@function
_ZN9rocsparseL17kernel_correctionILi1024ELi2EdiiEEvT3_T2_PKS2_S4_PKS1_PKT1_21rocsparse_index_base_S4_S4_S6_PS7_SA_S4_S4_S6_SB_SA_SB_PNS_15floating_traitsIS7_E6data_tEPKSE_: ; @_ZN9rocsparseL17kernel_correctionILi1024ELi2EdiiEEvT3_T2_PKS2_S4_PKS1_PKT1_21rocsparse_index_base_S4_S4_S6_PS7_SA_S4_S4_S6_SB_SA_SB_PNS_15floating_traitsIS7_E6data_tEPKSE_
; %bb.0:
	s_load_dword s33, s[4:5], 0x0
	v_lshrrev_b32_e32 v22, 1, v0
	s_lshl_b32 s35, s6, 10
	v_mov_b32_e32 v3, 0
	v_and_b32_e32 v23, 1, v0
	v_mov_b32_e32 v4, 0
	v_or_b32_e32 v1, s35, v22
	s_mov_b32 s3, exec_lo
	s_waitcnt lgkmcnt(0)
	v_cmpx_gt_i32_e64 s33, v1
	s_cbranch_execz .LBB22_64
; %bb.1:
	v_mov_b32_e32 v3, 0
	v_mov_b32_e32 v4, 0
	s_addk_i32 s35, 0x400
	s_mov_b32 s34, exec_lo
	v_cmpx_gt_u32_e64 s35, v1
	s_cbranch_execz .LBB22_63
; %bb.2:
	s_clause 0x6
	s_load_dword s36, s[4:5], 0x28
	s_load_dwordx8 s[8:15], s[4:5], 0x58
	s_load_dwordx8 s[16:23], s[4:5], 0x30
	;; [unrolled: 1-line block ×3, first 2 shown]
	s_load_dword s37, s[4:5], 0x50
	s_load_dwordx2 s[6:7], s[4:5], 0x80
	s_load_dword s38, s[4:5], 0x78
	v_mov_b32_e32 v3, 0
	v_mov_b32_e32 v4, 0
	;; [unrolled: 1-line block ×3, first 2 shown]
	s_mov_b32 s39, 0
	s_waitcnt lgkmcnt(0)
	v_subrev_nc_u32_e32 v24, s36, v23
	s_branch .LBB22_6
.LBB22_3:                               ;   in Loop: Header=BB22_6 Depth=1
	s_or_b32 exec_lo, exec_lo, s42
.LBB22_4:                               ;   in Loop: Header=BB22_6 Depth=1
	s_or_b32 exec_lo, exec_lo, s41
.LBB22_5:                               ;   in Loop: Header=BB22_6 Depth=1
	s_or_b32 exec_lo, exec_lo, s40
	v_add_nc_u32_e32 v1, 0x200, v1
	v_cmp_le_u32_e32 vcc_lo, s35, v1
	s_or_b32 s39, vcc_lo, s39
	s_andn2_b32 exec_lo, exec_lo, s39
	s_cbranch_execz .LBB22_62
.LBB22_6:                               ; =>This Loop Header: Depth=1
                                        ;     Child Loop BB22_10 Depth 2
                                        ;       Child Loop BB22_14 Depth 3
                                        ;       Child Loop BB22_27 Depth 3
	;; [unrolled: 1-line block ×5, first 2 shown]
	s_mov_b32 s40, exec_lo
	v_cmpx_gt_i32_e64 s33, v1
	s_cbranch_execz .LBB22_5
; %bb.7:                                ;   in Loop: Header=BB22_6 Depth=1
	v_ashrrev_i32_e32 v2, 31, v1
	s_mov_b32 s41, exec_lo
	v_lshlrev_b64 v[8:9], 2, v[1:2]
	v_add_co_u32 v10, vcc_lo, s24, v8
	v_add_co_ci_u32_e64 v11, null, s25, v9, vcc_lo
	v_add_co_u32 v12, vcc_lo, s26, v8
	v_add_co_ci_u32_e64 v13, null, s27, v9, vcc_lo
	global_load_dword v2, v[10:11], off
	global_load_dword v5, v[12:13], off
	s_waitcnt vmcnt(1)
	v_add_nc_u32_e32 v7, v24, v2
	s_waitcnt vmcnt(0)
	v_subrev_nc_u32_e32 v2, s36, v5
	v_cmpx_lt_i32_e64 v7, v2
	s_cbranch_execz .LBB22_4
; %bb.8:                                ;   in Loop: Header=BB22_6 Depth=1
	v_add_co_u32 v10, vcc_lo, s16, v8
	v_add_co_ci_u32_e64 v11, null, s17, v9, vcc_lo
	v_add_co_u32 v8, vcc_lo, s18, v8
	v_add_co_ci_u32_e64 v9, null, s19, v9, vcc_lo
	global_load_dword v5, v[10:11], off
	s_mov_b32 s42, 0
	global_load_dword v8, v[8:9], off
	s_waitcnt vmcnt(1)
	v_subrev_nc_u32_e32 v9, s37, v5
	s_waitcnt vmcnt(0)
	v_sub_nc_u32_e32 v25, v8, v5
	v_ashrrev_i32_e32 v10, 31, v9
	v_cmp_lt_i32_e64 s0, 0, v25
	v_lshlrev_b64 v[11:12], 2, v[9:10]
	v_lshlrev_b64 v[13:14], 3, v[9:10]
	v_add_co_u32 v26, vcc_lo, s20, v11
	v_add_co_ci_u32_e64 v27, null, s21, v12, vcc_lo
	v_add_co_u32 v28, vcc_lo, s22, v13
	v_add_co_ci_u32_e64 v29, null, s23, v14, vcc_lo
	s_branch .LBB22_10
.LBB22_9:                               ;   in Loop: Header=BB22_10 Depth=2
	s_or_b32 exec_lo, exec_lo, s2
	v_add_f64 v[10:11], v[16:17], -v[10:11]
	v_add_nc_u32_e32 v7, 2, v7
	v_cmp_ge_i32_e32 vcc_lo, v7, v2
	v_cmp_nlg_f64_e64 s1, 0x7ff00000, |v[10:11]|
	v_cmp_gt_f64_e64 s2, v[3:4], |v[10:11]|
	v_and_b32_e32 v5, 0x7fffffff, v11
	s_or_b32 s1, s1, s2
	s_or_b32 s42, vcc_lo, s42
	v_cndmask_b32_e64 v4, v5, v4, s1
	v_cndmask_b32_e64 v3, v10, v3, s1
	s_andn2_b32 exec_lo, exec_lo, s42
	s_cbranch_execz .LBB22_3
.LBB22_10:                              ;   Parent Loop BB22_6 Depth=1
                                        ; =>  This Loop Header: Depth=2
                                        ;       Child Loop BB22_14 Depth 3
                                        ;       Child Loop BB22_27 Depth 3
	;; [unrolled: 1-line block ×5, first 2 shown]
	v_ashrrev_i32_e32 v8, 31, v7
	v_lshlrev_b64 v[10:11], 2, v[7:8]
	v_add_co_u32 v10, vcc_lo, s28, v10
	v_add_co_ci_u32_e64 v11, null, s29, v11, vcc_lo
	global_load_dword v5, v[10:11], off
	s_waitcnt vmcnt(0)
	v_subrev_nc_u32_e32 v12, s36, v5
	v_ashrrev_i32_e32 v13, 31, v12
	v_lshlrev_b64 v[10:11], 2, v[12:13]
	v_add_co_u32 v14, vcc_lo, s8, v10
	v_add_co_ci_u32_e64 v15, null, s9, v11, vcc_lo
	v_add_co_u32 v10, vcc_lo, s10, v10
	v_add_co_ci_u32_e64 v11, null, s11, v11, vcc_lo
	global_load_dword v5, v[14:15], off
	global_load_dword v16, v[10:11], off
	v_mov_b32_e32 v15, 0
	v_mov_b32_e32 v10, 0
	;; [unrolled: 1-line block ×3, first 2 shown]
	s_waitcnt vmcnt(1)
	v_subrev_nc_u32_e32 v14, s38, v5
	s_waitcnt vmcnt(0)
	v_sub_nc_u32_e32 v30, v16, v5
	v_mov_b32_e32 v5, v15
	s_and_saveexec_b32 s2, s0
	s_cbranch_execz .LBB22_18
; %bb.11:                               ;   in Loop: Header=BB22_10 Depth=2
	v_ashrrev_i32_e32 v15, 31, v14
	v_mov_b32_e32 v10, 0
	v_mov_b32_e32 v11, 0
	;; [unrolled: 1-line block ×3, first 2 shown]
	s_mov_b32 s43, 0
	v_lshlrev_b64 v[17:18], 2, v[14:15]
	v_lshlrev_b64 v[15:16], 3, v[14:15]
                                        ; implicit-def: $sgpr44
	v_add_co_u32 v17, vcc_lo, s12, v17
	v_add_co_ci_u32_e64 v18, null, s13, v18, vcc_lo
	v_add_co_u32 v19, vcc_lo, s14, v15
	v_add_co_ci_u32_e64 v20, null, s15, v16, vcc_lo
	v_mov_b32_e32 v15, 0
	s_branch .LBB22_14
.LBB22_12:                              ;   in Loop: Header=BB22_14 Depth=3
	s_or_b32 exec_lo, exec_lo, s1
	v_cmp_le_i32_e32 vcc_lo, v21, v31
	v_cmp_ge_i32_e64 s1, v21, v31
	v_add_co_ci_u32_e64 v5, null, 0, v5, vcc_lo
	v_add_co_ci_u32_e64 v15, null, 0, v15, s1
	s_andn2_b32 s1, s44, exec_lo
	v_cmp_ge_i32_e32 vcc_lo, v5, v25
	s_and_b32 s44, vcc_lo, exec_lo
	s_or_b32 s44, s1, s44
.LBB22_13:                              ;   in Loop: Header=BB22_14 Depth=3
	s_or_b32 exec_lo, exec_lo, s45
	s_and_b32 s1, exec_lo, s44
	s_or_b32 s43, s1, s43
	s_andn2_b32 exec_lo, exec_lo, s43
	s_cbranch_execz .LBB22_17
.LBB22_14:                              ;   Parent Loop BB22_6 Depth=1
                                        ;     Parent Loop BB22_10 Depth=2
                                        ; =>    This Inner Loop Header: Depth=3
	s_or_b32 s44, s44, exec_lo
	s_mov_b32 s45, exec_lo
	v_cmpx_lt_i32_e64 v15, v30
	s_cbranch_execz .LBB22_13
; %bb.15:                               ;   in Loop: Header=BB22_14 Depth=3
	v_mov_b32_e32 v16, v6
	v_lshlrev_b64 v[31:32], 2, v[5:6]
	s_mov_b32 s1, exec_lo
	v_lshlrev_b64 v[33:34], 2, v[15:16]
	v_add_co_u32 v31, vcc_lo, v26, v31
	v_add_co_ci_u32_e64 v32, null, v27, v32, vcc_lo
	v_add_co_u32 v33, vcc_lo, v17, v33
	v_add_co_ci_u32_e64 v34, null, v18, v34, vcc_lo
	global_load_dword v21, v[31:32], off
	global_load_dword v31, v[33:34], off
	s_waitcnt vmcnt(1)
	v_subrev_nc_u32_e32 v21, s37, v21
	s_waitcnt vmcnt(0)
	v_subrev_nc_u32_e32 v31, s38, v31
	v_cmpx_eq_u32_e64 v21, v31
	s_cbranch_execz .LBB22_12
; %bb.16:                               ;   in Loop: Header=BB22_14 Depth=3
	v_lshlrev_b64 v[32:33], 3, v[5:6]
	v_lshlrev_b64 v[34:35], 3, v[15:16]
	v_add_co_u32 v32, vcc_lo, v28, v32
	v_add_co_ci_u32_e64 v33, null, v29, v33, vcc_lo
	v_add_co_u32 v34, vcc_lo, v19, v34
	v_add_co_ci_u32_e64 v35, null, v20, v35, vcc_lo
	global_load_dwordx2 v[32:33], v[32:33], off
	global_load_dwordx2 v[34:35], v[34:35], off
	s_waitcnt vmcnt(0)
	v_fma_f64 v[10:11], v[32:33], v[34:35], v[10:11]
	s_branch .LBB22_12
.LBB22_17:                              ;   in Loop: Header=BB22_10 Depth=2
	s_or_b32 exec_lo, exec_lo, s43
.LBB22_18:                              ;   in Loop: Header=BB22_10 Depth=2
	s_or_b32 exec_lo, exec_lo, s2
	v_lshlrev_b64 v[16:17], 3, v[7:8]
	v_cmp_le_i32_e64 s1, v1, v12
	s_mov_b32 s2, exec_lo
	v_add_co_u32 v16, vcc_lo, s30, v16
	v_add_co_ci_u32_e64 v17, null, s31, v17, vcc_lo
	global_load_dwordx2 v[16:17], v[16:17], off
	s_waitcnt vmcnt(0)
	v_add_f64 v[18:19], v[16:17], -v[10:11]
	v_cmpx_gt_i32_e64 v1, v12
	s_cbranch_execz .LBB22_20
; %bb.19:                               ;   in Loop: Header=BB22_10 Depth=2
	v_lshlrev_b64 v[20:21], 3, v[12:13]
	v_add_co_u32 v20, vcc_lo, s6, v20
	v_add_co_ci_u32_e64 v21, null, s7, v21, vcc_lo
	global_load_dwordx2 v[20:21], v[20:21], off
	s_waitcnt vmcnt(0)
	v_div_scale_f64 v[31:32], null, v[20:21], v[20:21], v[18:19]
	v_rcp_f64_e32 v[33:34], v[31:32]
	v_fma_f64 v[35:36], -v[31:32], v[33:34], 1.0
	v_fma_f64 v[33:34], v[33:34], v[35:36], v[33:34]
	v_fma_f64 v[35:36], -v[31:32], v[33:34], 1.0
	v_fma_f64 v[33:34], v[33:34], v[35:36], v[33:34]
	v_div_scale_f64 v[35:36], vcc_lo, v[18:19], v[20:21], v[18:19]
	v_mul_f64 v[37:38], v[35:36], v[33:34]
	v_fma_f64 v[31:32], -v[31:32], v[37:38], v[35:36]
	v_div_fmas_f64 v[31:32], v[31:32], v[33:34], v[37:38]
	v_div_fixup_f64 v[18:19], v[31:32], v[20:21], v[18:19]
.LBB22_20:                              ;   in Loop: Header=BB22_10 Depth=2
	s_or_b32 exec_lo, exec_lo, s2
	s_mov_b32 s43, exec_lo
	v_cmp_lt_i32_e32 vcc_lo, v15, v30
	v_cmpx_ge_i32_e64 v15, v30
	s_xor_b32 s43, exec_lo, s43
	s_cbranch_execnz .LBB22_24
; %bb.21:                               ;   in Loop: Header=BB22_10 Depth=2
	s_andn2_saveexec_b32 s43, s43
	s_cbranch_execnz .LBB22_33
.LBB22_22:                              ;   in Loop: Header=BB22_10 Depth=2
	s_or_b32 exec_lo, exec_lo, s43
	s_mov_b32 s43, exec_lo
	v_cmpx_eq_u32_e64 v1, v12
	s_cbranch_execnz .LBB22_40
.LBB22_23:                              ;   in Loop: Header=BB22_10 Depth=2
	s_or_b32 exec_lo, exec_lo, s43
	v_cmp_class_f64_e64 s43, v[18:19], 0x1f8
	s_and_saveexec_b32 s2, s43
	s_cbranch_execz .LBB22_9
	s_branch .LBB22_41
.LBB22_24:                              ;   in Loop: Header=BB22_10 Depth=2
	s_mov_b32 s44, exec_lo
	v_cmpx_lt_i32_e64 v5, v25
	s_cbranch_execz .LBB22_32
; %bb.25:                               ;   in Loop: Header=BB22_10 Depth=2
	v_mov_b32_e32 v8, v5
	s_mov_b32 s45, 0
                                        ; implicit-def: $sgpr46
                                        ; implicit-def: $sgpr48
                                        ; implicit-def: $sgpr47
	s_inst_prefetch 0x1
	s_branch .LBB22_27
	.p2align	6
.LBB22_26:                              ;   in Loop: Header=BB22_27 Depth=3
	s_or_b32 exec_lo, exec_lo, s49
	s_and_b32 s2, exec_lo, s48
	s_or_b32 s45, s2, s45
	s_andn2_b32 s2, s46, exec_lo
	s_and_b32 s46, s47, exec_lo
	s_or_b32 s46, s2, s46
	s_andn2_b32 exec_lo, exec_lo, s45
	s_cbranch_execz .LBB22_29
.LBB22_27:                              ;   Parent Loop BB22_6 Depth=1
                                        ;     Parent Loop BB22_10 Depth=2
                                        ; =>    This Inner Loop Header: Depth=3
	v_add_nc_u32_e32 v20, v9, v8
	s_or_b32 s47, s47, exec_lo
	s_or_b32 s48, s48, exec_lo
	s_mov_b32 s49, exec_lo
	v_ashrrev_i32_e32 v21, 31, v20
	v_lshlrev_b64 v[31:32], 2, v[20:21]
	v_add_co_u32 v31, s2, s20, v31
	v_add_co_ci_u32_e64 v32, null, s21, v32, s2
	global_load_dword v31, v[31:32], off
	s_waitcnt vmcnt(0)
	v_subrev_nc_u32_e32 v31, s37, v31
	v_cmpx_ne_u32_e64 v31, v12
	s_cbranch_execz .LBB22_26
; %bb.28:                               ;   in Loop: Header=BB22_27 Depth=3
	v_add_nc_u32_e32 v8, 1, v8
	s_andn2_b32 s48, s48, exec_lo
	s_andn2_b32 s47, s47, exec_lo
	v_cmp_ge_i32_e64 s2, v8, v25
	s_and_b32 s2, s2, exec_lo
	s_or_b32 s48, s48, s2
	s_branch .LBB22_26
.LBB22_29:                              ;   in Loop: Header=BB22_10 Depth=2
	s_inst_prefetch 0x2
	s_or_b32 exec_lo, exec_lo, s45
	s_and_saveexec_b32 s2, s46
	s_xor_b32 s45, exec_lo, s2
	s_cbranch_execz .LBB22_31
; %bb.30:                               ;   in Loop: Header=BB22_10 Depth=2
	v_lshlrev_b64 v[20:21], 3, v[20:21]
	v_lshlrev_b64 v[31:32], 3, v[12:13]
	v_add_co_u32 v20, s2, s22, v20
	v_add_co_ci_u32_e64 v21, null, s23, v21, s2
	v_add_co_u32 v31, s2, s6, v31
	v_add_co_ci_u32_e64 v32, null, s7, v32, s2
	global_load_dwordx2 v[20:21], v[20:21], off
	global_load_dwordx2 v[31:32], v[31:32], off
	s_waitcnt vmcnt(0)
	v_fma_f64 v[10:11], v[20:21], v[31:32], v[10:11]
.LBB22_31:                              ;   in Loop: Header=BB22_10 Depth=2
	s_or_b32 exec_lo, exec_lo, s45
.LBB22_32:                              ;   in Loop: Header=BB22_10 Depth=2
	s_or_b32 exec_lo, exec_lo, s44
	s_andn2_saveexec_b32 s43, s43
	s_cbranch_execz .LBB22_22
.LBB22_33:                              ;   in Loop: Header=BB22_10 Depth=2
	v_mov_b32_e32 v8, v15
	s_mov_b32 s44, 0
                                        ; implicit-def: $sgpr45
                                        ; implicit-def: $sgpr47
                                        ; implicit-def: $sgpr46
	s_inst_prefetch 0x1
	s_branch .LBB22_35
	.p2align	6
.LBB22_34:                              ;   in Loop: Header=BB22_35 Depth=3
	s_or_b32 exec_lo, exec_lo, s48
	s_and_b32 s2, exec_lo, s47
	s_or_b32 s44, s2, s44
	s_andn2_b32 s2, s45, exec_lo
	s_and_b32 s45, s46, exec_lo
	s_or_b32 s45, s2, s45
	s_andn2_b32 exec_lo, exec_lo, s44
	s_cbranch_execz .LBB22_37
.LBB22_35:                              ;   Parent Loop BB22_6 Depth=1
                                        ;     Parent Loop BB22_10 Depth=2
                                        ; =>    This Inner Loop Header: Depth=3
	v_add_nc_u32_e32 v20, v14, v8
	s_or_b32 s46, s46, exec_lo
	s_or_b32 s47, s47, exec_lo
	s_mov_b32 s48, exec_lo
	v_ashrrev_i32_e32 v21, 31, v20
	v_lshlrev_b64 v[31:32], 2, v[20:21]
	v_add_co_u32 v31, s2, s12, v31
	v_add_co_ci_u32_e64 v32, null, s13, v32, s2
	global_load_dword v31, v[31:32], off
	s_waitcnt vmcnt(0)
	v_subrev_nc_u32_e32 v31, s38, v31
	v_cmpx_ne_u32_e64 v31, v1
	s_cbranch_execz .LBB22_34
; %bb.36:                               ;   in Loop: Header=BB22_35 Depth=3
	v_add_nc_u32_e32 v8, 1, v8
	s_andn2_b32 s47, s47, exec_lo
	s_andn2_b32 s46, s46, exec_lo
	v_cmp_ge_i32_e64 s2, v8, v30
	s_and_b32 s2, s2, exec_lo
	s_or_b32 s47, s47, s2
	s_branch .LBB22_34
.LBB22_37:                              ;   in Loop: Header=BB22_10 Depth=2
	s_inst_prefetch 0x2
	s_or_b32 exec_lo, exec_lo, s44
	s_and_saveexec_b32 s2, s45
	s_xor_b32 s44, exec_lo, s2
	s_cbranch_execz .LBB22_39
; %bb.38:                               ;   in Loop: Header=BB22_10 Depth=2
	v_lshlrev_b64 v[20:21], 3, v[20:21]
	v_add_co_u32 v20, s2, s14, v20
	v_add_co_ci_u32_e64 v21, null, s15, v21, s2
	global_load_dwordx2 v[20:21], v[20:21], off
	s_waitcnt vmcnt(0)
	v_add_f64 v[10:11], v[10:11], v[20:21]
.LBB22_39:                              ;   in Loop: Header=BB22_10 Depth=2
	s_or_b32 exec_lo, exec_lo, s44
	s_or_b32 exec_lo, exec_lo, s43
	s_mov_b32 s43, exec_lo
	v_cmpx_eq_u32_e64 v1, v12
	s_cbranch_execz .LBB22_23
.LBB22_40:                              ;   in Loop: Header=BB22_10 Depth=2
	v_lshlrev_b64 v[20:21], 3, v[12:13]
	v_add_co_u32 v20, s2, s6, v20
	v_add_co_ci_u32_e64 v21, null, s7, v21, s2
	global_load_dwordx2 v[20:21], v[20:21], off
	s_waitcnt vmcnt(0)
	v_add_f64 v[10:11], v[10:11], v[20:21]
	s_or_b32 exec_lo, exec_lo, s43
	v_cmp_class_f64_e64 s43, v[18:19], 0x1f8
	s_and_saveexec_b32 s2, s43
	s_cbranch_execz .LBB22_9
.LBB22_41:                              ;   in Loop: Header=BB22_10 Depth=2
	s_and_saveexec_b32 s43, s1
	s_xor_b32 s43, exec_lo, s43
	s_cbranch_execz .LBB22_54
; %bb.42:                               ;   in Loop: Header=BB22_10 Depth=2
	s_mov_b32 s44, exec_lo
	v_cmpx_ge_i32_e64 v1, v12
	s_xor_b32 s44, exec_lo, s44
	s_cbranch_execz .LBB22_44
; %bb.43:                               ;   in Loop: Header=BB22_10 Depth=2
	v_lshlrev_b64 v[12:13], 3, v[12:13]
                                        ; implicit-def: $vgpr15
                                        ; implicit-def: $vgpr14
                                        ; implicit-def: $vgpr30
	v_add_co_u32 v12, s1, s6, v12
	v_add_co_ci_u32_e64 v13, null, s7, v13, s1
	global_store_dwordx2 v[12:13], v[18:19], off
                                        ; implicit-def: $vgpr18_vgpr19
.LBB22_44:                              ;   in Loop: Header=BB22_10 Depth=2
	s_andn2_saveexec_b32 s1, s44
	s_cbranch_execz .LBB22_53
; %bb.45:                               ;   in Loop: Header=BB22_10 Depth=2
	s_and_saveexec_b32 s44, vcc_lo
	s_cbranch_execz .LBB22_52
; %bb.46:                               ;   in Loop: Header=BB22_10 Depth=2
	s_mov_b32 s45, 0
                                        ; implicit-def: $sgpr46
                                        ; implicit-def: $sgpr48
                                        ; implicit-def: $sgpr47
	s_inst_prefetch 0x1
	s_branch .LBB22_48
	.p2align	6
.LBB22_47:                              ;   in Loop: Header=BB22_48 Depth=3
	s_or_b32 exec_lo, exec_lo, s49
	s_and_b32 s49, exec_lo, s48
	s_or_b32 s45, s49, s45
	s_andn2_b32 s46, s46, exec_lo
	s_and_b32 s49, s47, exec_lo
	s_or_b32 s46, s46, s49
	s_andn2_b32 exec_lo, exec_lo, s45
	s_cbranch_execz .LBB22_50
.LBB22_48:                              ;   Parent Loop BB22_6 Depth=1
                                        ;     Parent Loop BB22_10 Depth=2
                                        ; =>    This Inner Loop Header: Depth=3
	v_add_nc_u32_e32 v12, v14, v15
	s_or_b32 s47, s47, exec_lo
	s_or_b32 s48, s48, exec_lo
	s_mov_b32 s49, exec_lo
	v_ashrrev_i32_e32 v13, 31, v12
	v_lshlrev_b64 v[20:21], 2, v[12:13]
	v_add_co_u32 v20, vcc_lo, s12, v20
	v_add_co_ci_u32_e64 v21, null, s13, v21, vcc_lo
	global_load_dword v5, v[20:21], off
	s_waitcnt vmcnt(0)
	v_subrev_nc_u32_e32 v5, s38, v5
	v_cmpx_ne_u32_e64 v5, v1
	s_cbranch_execz .LBB22_47
; %bb.49:                               ;   in Loop: Header=BB22_48 Depth=3
	v_add_nc_u32_e32 v15, 1, v15
	s_andn2_b32 s48, s48, exec_lo
	s_andn2_b32 s47, s47, exec_lo
	v_cmp_ge_i32_e32 vcc_lo, v15, v30
	s_and_b32 s50, vcc_lo, exec_lo
	s_or_b32 s48, s48, s50
	s_branch .LBB22_47
.LBB22_50:                              ;   in Loop: Header=BB22_10 Depth=2
	s_inst_prefetch 0x2
	s_or_b32 exec_lo, exec_lo, s45
	s_and_saveexec_b32 s45, s46
	s_xor_b32 s45, exec_lo, s45
	s_cbranch_execz .LBB22_52
; %bb.51:                               ;   in Loop: Header=BB22_10 Depth=2
	v_lshlrev_b64 v[12:13], 3, v[12:13]
	v_add_co_u32 v12, vcc_lo, s14, v12
	v_add_co_ci_u32_e64 v13, null, s15, v13, vcc_lo
	global_store_dwordx2 v[12:13], v[18:19], off
.LBB22_52:                              ;   in Loop: Header=BB22_10 Depth=2
	s_or_b32 exec_lo, exec_lo, s44
.LBB22_53:                              ;   in Loop: Header=BB22_10 Depth=2
	s_or_b32 exec_lo, exec_lo, s1
                                        ; implicit-def: $vgpr18_vgpr19
                                        ; implicit-def: $vgpr12_vgpr13
.LBB22_54:                              ;   in Loop: Header=BB22_10 Depth=2
	s_andn2_saveexec_b32 s1, s43
	s_cbranch_execz .LBB22_9
; %bb.55:                               ;   in Loop: Header=BB22_10 Depth=2
	v_cmp_lt_i32_e32 vcc_lo, v5, v25
	s_and_b32 exec_lo, exec_lo, vcc_lo
	s_cbranch_execz .LBB22_9
; %bb.56:                               ;   in Loop: Header=BB22_10 Depth=2
	s_mov_b32 s1, 0
                                        ; implicit-def: $sgpr43
                                        ; implicit-def: $sgpr45
                                        ; implicit-def: $sgpr44
	s_inst_prefetch 0x1
	s_branch .LBB22_58
	.p2align	6
.LBB22_57:                              ;   in Loop: Header=BB22_58 Depth=3
	s_or_b32 exec_lo, exec_lo, s46
	s_and_b32 s46, exec_lo, s45
	s_or_b32 s1, s46, s1
	s_andn2_b32 s43, s43, exec_lo
	s_and_b32 s46, s44, exec_lo
	s_or_b32 s43, s43, s46
	s_andn2_b32 exec_lo, exec_lo, s1
	s_cbranch_execz .LBB22_60
.LBB22_58:                              ;   Parent Loop BB22_6 Depth=1
                                        ;     Parent Loop BB22_10 Depth=2
                                        ; =>    This Inner Loop Header: Depth=3
	v_add_nc_u32_e32 v13, v9, v5
	s_or_b32 s44, s44, exec_lo
	s_or_b32 s45, s45, exec_lo
	s_mov_b32 s46, exec_lo
	v_ashrrev_i32_e32 v14, 31, v13
	v_lshlrev_b64 v[20:21], 2, v[13:14]
	v_add_co_u32 v20, vcc_lo, s20, v20
	v_add_co_ci_u32_e64 v21, null, s21, v21, vcc_lo
	global_load_dword v8, v[20:21], off
	s_waitcnt vmcnt(0)
	v_subrev_nc_u32_e32 v8, s37, v8
	v_cmpx_ne_u32_e64 v8, v12
	s_cbranch_execz .LBB22_57
; %bb.59:                               ;   in Loop: Header=BB22_58 Depth=3
	v_add_nc_u32_e32 v5, 1, v5
	s_andn2_b32 s45, s45, exec_lo
	s_andn2_b32 s44, s44, exec_lo
	v_cmp_ge_i32_e32 vcc_lo, v5, v25
	s_and_b32 s47, vcc_lo, exec_lo
	s_or_b32 s45, s45, s47
	s_branch .LBB22_57
.LBB22_60:                              ;   in Loop: Header=BB22_10 Depth=2
	s_inst_prefetch 0x2
	s_or_b32 exec_lo, exec_lo, s1
	s_and_saveexec_b32 s1, s43
	s_xor_b32 s1, exec_lo, s1
	s_cbranch_execz .LBB22_9
; %bb.61:                               ;   in Loop: Header=BB22_10 Depth=2
	v_lshlrev_b64 v[12:13], 3, v[13:14]
	v_add_co_u32 v12, vcc_lo, s22, v12
	v_add_co_ci_u32_e64 v13, null, s23, v13, vcc_lo
	global_store_dwordx2 v[12:13], v[18:19], off
	s_branch .LBB22_9
.LBB22_62:
	s_or_b32 exec_lo, exec_lo, s39
.LBB22_63:
	s_or_b32 exec_lo, exec_lo, s34
.LBB22_64:
	s_or_b32 exec_lo, exec_lo, s3
	v_mbcnt_lo_u32_b32 v1, -1, 0
	s_mov_b32 s0, exec_lo
	v_xor_b32_e32 v2, 1, v1
	v_cmp_gt_i32_e32 vcc_lo, 32, v2
	v_cndmask_b32_e32 v1, v1, v2, vcc_lo
	v_lshlrev_b32_e32 v2, 2, v1
	ds_bpermute_b32 v1, v2, v3
	ds_bpermute_b32 v5, v2, v4
	v_cmpx_ne_u32_e32 0, v23
	s_cbranch_execz .LBB22_66
; %bb.65:
	s_waitcnt lgkmcnt(0)
	v_mov_b32_e32 v2, v5
	v_lshlrev_b32_e32 v6, 3, v22
	v_cmp_lt_f64_e32 vcc_lo, v[3:4], v[1:2]
	v_cndmask_b32_e32 v2, v4, v5, vcc_lo
	v_cndmask_b32_e32 v1, v3, v1, vcc_lo
	ds_write_b64 v6, v[1:2]
.LBB22_66:
	s_or_b32 exec_lo, exec_lo, s0
	s_waitcnt lgkmcnt(1)
	v_lshlrev_b32_e32 v1, 3, v0
	s_mov_b32 s0, exec_lo
	s_waitcnt lgkmcnt(0)
	s_waitcnt_vscnt null, 0x0
	s_barrier
	buffer_gl0_inv
	v_cmpx_gt_u32_e32 0x100, v0
	s_cbranch_execz .LBB22_68
; %bb.67:
	ds_read2st64_b64 v[2:5], v1 offset1:4
	s_waitcnt lgkmcnt(0)
	v_cmp_lt_f64_e32 vcc_lo, v[2:3], v[4:5]
	v_cndmask_b32_e32 v3, v3, v5, vcc_lo
	v_cndmask_b32_e32 v2, v2, v4, vcc_lo
	ds_write_b64 v1, v[2:3]
.LBB22_68:
	s_or_b32 exec_lo, exec_lo, s0
	s_mov_b32 s0, exec_lo
	s_waitcnt lgkmcnt(0)
	s_barrier
	buffer_gl0_inv
	v_cmpx_gt_u32_e32 0x80, v0
	s_cbranch_execz .LBB22_70
; %bb.69:
	ds_read2st64_b64 v[2:5], v1 offset1:2
	s_waitcnt lgkmcnt(0)
	v_cmp_lt_f64_e32 vcc_lo, v[2:3], v[4:5]
	v_cndmask_b32_e32 v3, v3, v5, vcc_lo
	v_cndmask_b32_e32 v2, v2, v4, vcc_lo
	ds_write_b64 v1, v[2:3]
.LBB22_70:
	s_or_b32 exec_lo, exec_lo, s0
	s_mov_b32 s0, exec_lo
	s_waitcnt lgkmcnt(0)
	;; [unrolled: 15-line block ×3, first 2 shown]
	s_barrier
	buffer_gl0_inv
	v_cmpx_gt_u32_e32 32, v0
	s_cbranch_execz .LBB22_74
; %bb.73:
	ds_read2_b64 v[2:5], v1 offset1:32
	s_waitcnt lgkmcnt(0)
	v_cmp_lt_f64_e32 vcc_lo, v[2:3], v[4:5]
	v_cndmask_b32_e32 v3, v3, v5, vcc_lo
	v_cndmask_b32_e32 v2, v2, v4, vcc_lo
	ds_write_b64 v1, v[2:3]
.LBB22_74:
	s_or_b32 exec_lo, exec_lo, s0
	s_mov_b32 s0, exec_lo
	s_waitcnt lgkmcnt(0)
	s_barrier
	buffer_gl0_inv
	v_cmpx_gt_u32_e32 16, v0
	s_cbranch_execz .LBB22_76
; %bb.75:
	ds_read2_b64 v[2:5], v1 offset1:16
	s_waitcnt lgkmcnt(0)
	v_cmp_lt_f64_e32 vcc_lo, v[2:3], v[4:5]
	v_cndmask_b32_e32 v3, v3, v5, vcc_lo
	v_cndmask_b32_e32 v2, v2, v4, vcc_lo
	ds_write_b64 v1, v[2:3]
.LBB22_76:
	s_or_b32 exec_lo, exec_lo, s0
	s_mov_b32 s0, exec_lo
	s_waitcnt lgkmcnt(0)
	;; [unrolled: 15-line block ×4, first 2 shown]
	s_barrier
	buffer_gl0_inv
	v_cmpx_gt_u32_e32 2, v0
	s_cbranch_execz .LBB22_82
; %bb.81:
	ds_read2_b64 v[2:5], v1 offset1:2
	s_waitcnt lgkmcnt(0)
	v_cmp_lt_f64_e32 vcc_lo, v[2:3], v[4:5]
	v_cndmask_b32_e32 v3, v3, v5, vcc_lo
	v_cndmask_b32_e32 v2, v2, v4, vcc_lo
	ds_write_b64 v1, v[2:3]
.LBB22_82:
	s_or_b32 exec_lo, exec_lo, s0
	v_cmp_eq_u32_e32 vcc_lo, 0, v0
	s_waitcnt lgkmcnt(0)
	s_barrier
	buffer_gl0_inv
	s_and_saveexec_b32 s1, vcc_lo
	s_cbranch_execz .LBB22_84
; %bb.83:
	v_mov_b32_e32 v4, 0
	ds_read_b128 v[0:3], v4
	s_waitcnt lgkmcnt(0)
	v_cmp_lt_f64_e64 s0, v[0:1], v[2:3]
	v_cndmask_b32_e64 v1, v1, v3, s0
	v_cndmask_b32_e64 v0, v0, v2, s0
	ds_write_b64 v4, v[0:1]
.LBB22_84:
	s_or_b32 exec_lo, exec_lo, s1
	s_waitcnt lgkmcnt(0)
	s_barrier
	buffer_gl0_inv
	s_and_saveexec_b32 s0, vcc_lo
	s_cbranch_execz .LBB22_88
; %bb.85:
	v_mbcnt_lo_u32_b32 v0, exec_lo, 0
	s_mov_b32 s6, 0
	v_cmp_eq_u32_e32 vcc_lo, 0, v0
	s_and_b32 exec_lo, exec_lo, vcc_lo
	s_cbranch_execz .LBB22_88
; %bb.86:
	s_load_dwordx4 s[0:3], s[4:5], 0x88
	v_mov_b32_e32 v6, 0
	ds_read_b64 v[0:1], v6
	s_waitcnt lgkmcnt(0)
	s_load_dwordx2 s[2:3], s[2:3], 0x0
	s_waitcnt lgkmcnt(0)
	v_div_scale_f64 v[2:3], null, s[2:3], s[2:3], v[0:1]
	v_rcp_f64_e32 v[4:5], v[2:3]
	v_fma_f64 v[7:8], -v[2:3], v[4:5], 1.0
	v_fma_f64 v[4:5], v[4:5], v[7:8], v[4:5]
	v_fma_f64 v[7:8], -v[2:3], v[4:5], 1.0
	v_fma_f64 v[4:5], v[4:5], v[7:8], v[4:5]
	v_div_scale_f64 v[7:8], vcc_lo, v[0:1], s[2:3], v[0:1]
	v_mul_f64 v[9:10], v[7:8], v[4:5]
	v_fma_f64 v[2:3], -v[2:3], v[9:10], v[7:8]
	v_div_fmas_f64 v[2:3], v[2:3], v[4:5], v[9:10]
	v_div_fixup_f64 v[0:1], v[2:3], s[2:3], v[0:1]
	s_load_dwordx2 s[2:3], s[0:1], 0x0
	s_waitcnt lgkmcnt(0)
	v_mov_b32_e32 v2, s2
	v_max_f64 v[4:5], v[0:1], v[0:1]
	v_mov_b32_e32 v3, s3
.LBB22_87:                              ; =>This Inner Loop Header: Depth=1
	v_max_f64 v[0:1], v[2:3], v[2:3]
	v_max_f64 v[0:1], v[0:1], v[4:5]
	global_atomic_cmpswap_x2 v[0:1], v6, v[0:3], s[0:1] glc
	s_waitcnt vmcnt(0)
	v_cmp_eq_u64_e32 vcc_lo, v[0:1], v[2:3]
	v_mov_b32_e32 v3, v1
	v_mov_b32_e32 v2, v0
	s_or_b32 s6, vcc_lo, s6
	s_andn2_b32 exec_lo, exec_lo, s6
	s_cbranch_execnz .LBB22_87
.LBB22_88:
	s_endpgm
	.section	.rodata,"a",@progbits
	.p2align	6, 0x0
	.amdhsa_kernel _ZN9rocsparseL17kernel_correctionILi1024ELi2EdiiEEvT3_T2_PKS2_S4_PKS1_PKT1_21rocsparse_index_base_S4_S4_S6_PS7_SA_S4_S4_S6_SB_SA_SB_PNS_15floating_traitsIS7_E6data_tEPKSE_
		.amdhsa_group_segment_fixed_size 4096
		.amdhsa_private_segment_fixed_size 0
		.amdhsa_kernarg_size 152
		.amdhsa_user_sgpr_count 6
		.amdhsa_user_sgpr_private_segment_buffer 1
		.amdhsa_user_sgpr_dispatch_ptr 0
		.amdhsa_user_sgpr_queue_ptr 0
		.amdhsa_user_sgpr_kernarg_segment_ptr 1
		.amdhsa_user_sgpr_dispatch_id 0
		.amdhsa_user_sgpr_flat_scratch_init 0
		.amdhsa_user_sgpr_private_segment_size 0
		.amdhsa_wavefront_size32 1
		.amdhsa_uses_dynamic_stack 0
		.amdhsa_system_sgpr_private_segment_wavefront_offset 0
		.amdhsa_system_sgpr_workgroup_id_x 1
		.amdhsa_system_sgpr_workgroup_id_y 0
		.amdhsa_system_sgpr_workgroup_id_z 0
		.amdhsa_system_sgpr_workgroup_info 0
		.amdhsa_system_vgpr_workitem_id 0
		.amdhsa_next_free_vgpr 39
		.amdhsa_next_free_sgpr 51
		.amdhsa_reserve_vcc 1
		.amdhsa_reserve_flat_scratch 0
		.amdhsa_float_round_mode_32 0
		.amdhsa_float_round_mode_16_64 0
		.amdhsa_float_denorm_mode_32 3
		.amdhsa_float_denorm_mode_16_64 3
		.amdhsa_dx10_clamp 1
		.amdhsa_ieee_mode 1
		.amdhsa_fp16_overflow 0
		.amdhsa_workgroup_processor_mode 1
		.amdhsa_memory_ordered 1
		.amdhsa_forward_progress 1
		.amdhsa_shared_vgpr_count 0
		.amdhsa_exception_fp_ieee_invalid_op 0
		.amdhsa_exception_fp_denorm_src 0
		.amdhsa_exception_fp_ieee_div_zero 0
		.amdhsa_exception_fp_ieee_overflow 0
		.amdhsa_exception_fp_ieee_underflow 0
		.amdhsa_exception_fp_ieee_inexact 0
		.amdhsa_exception_int_div_zero 0
	.end_amdhsa_kernel
	.section	.text._ZN9rocsparseL17kernel_correctionILi1024ELi2EdiiEEvT3_T2_PKS2_S4_PKS1_PKT1_21rocsparse_index_base_S4_S4_S6_PS7_SA_S4_S4_S6_SB_SA_SB_PNS_15floating_traitsIS7_E6data_tEPKSE_,"axG",@progbits,_ZN9rocsparseL17kernel_correctionILi1024ELi2EdiiEEvT3_T2_PKS2_S4_PKS1_PKT1_21rocsparse_index_base_S4_S4_S6_PS7_SA_S4_S4_S6_SB_SA_SB_PNS_15floating_traitsIS7_E6data_tEPKSE_,comdat
.Lfunc_end22:
	.size	_ZN9rocsparseL17kernel_correctionILi1024ELi2EdiiEEvT3_T2_PKS2_S4_PKS1_PKT1_21rocsparse_index_base_S4_S4_S6_PS7_SA_S4_S4_S6_SB_SA_SB_PNS_15floating_traitsIS7_E6data_tEPKSE_, .Lfunc_end22-_ZN9rocsparseL17kernel_correctionILi1024ELi2EdiiEEvT3_T2_PKS2_S4_PKS1_PKT1_21rocsparse_index_base_S4_S4_S6_PS7_SA_S4_S4_S6_SB_SA_SB_PNS_15floating_traitsIS7_E6data_tEPKSE_
                                        ; -- End function
	.set _ZN9rocsparseL17kernel_correctionILi1024ELi2EdiiEEvT3_T2_PKS2_S4_PKS1_PKT1_21rocsparse_index_base_S4_S4_S6_PS7_SA_S4_S4_S6_SB_SA_SB_PNS_15floating_traitsIS7_E6data_tEPKSE_.num_vgpr, 39
	.set _ZN9rocsparseL17kernel_correctionILi1024ELi2EdiiEEvT3_T2_PKS2_S4_PKS1_PKT1_21rocsparse_index_base_S4_S4_S6_PS7_SA_S4_S4_S6_SB_SA_SB_PNS_15floating_traitsIS7_E6data_tEPKSE_.num_agpr, 0
	.set _ZN9rocsparseL17kernel_correctionILi1024ELi2EdiiEEvT3_T2_PKS2_S4_PKS1_PKT1_21rocsparse_index_base_S4_S4_S6_PS7_SA_S4_S4_S6_SB_SA_SB_PNS_15floating_traitsIS7_E6data_tEPKSE_.numbered_sgpr, 51
	.set _ZN9rocsparseL17kernel_correctionILi1024ELi2EdiiEEvT3_T2_PKS2_S4_PKS1_PKT1_21rocsparse_index_base_S4_S4_S6_PS7_SA_S4_S4_S6_SB_SA_SB_PNS_15floating_traitsIS7_E6data_tEPKSE_.num_named_barrier, 0
	.set _ZN9rocsparseL17kernel_correctionILi1024ELi2EdiiEEvT3_T2_PKS2_S4_PKS1_PKT1_21rocsparse_index_base_S4_S4_S6_PS7_SA_S4_S4_S6_SB_SA_SB_PNS_15floating_traitsIS7_E6data_tEPKSE_.private_seg_size, 0
	.set _ZN9rocsparseL17kernel_correctionILi1024ELi2EdiiEEvT3_T2_PKS2_S4_PKS1_PKT1_21rocsparse_index_base_S4_S4_S6_PS7_SA_S4_S4_S6_SB_SA_SB_PNS_15floating_traitsIS7_E6data_tEPKSE_.uses_vcc, 1
	.set _ZN9rocsparseL17kernel_correctionILi1024ELi2EdiiEEvT3_T2_PKS2_S4_PKS1_PKT1_21rocsparse_index_base_S4_S4_S6_PS7_SA_S4_S4_S6_SB_SA_SB_PNS_15floating_traitsIS7_E6data_tEPKSE_.uses_flat_scratch, 0
	.set _ZN9rocsparseL17kernel_correctionILi1024ELi2EdiiEEvT3_T2_PKS2_S4_PKS1_PKT1_21rocsparse_index_base_S4_S4_S6_PS7_SA_S4_S4_S6_SB_SA_SB_PNS_15floating_traitsIS7_E6data_tEPKSE_.has_dyn_sized_stack, 0
	.set _ZN9rocsparseL17kernel_correctionILi1024ELi2EdiiEEvT3_T2_PKS2_S4_PKS1_PKT1_21rocsparse_index_base_S4_S4_S6_PS7_SA_S4_S4_S6_SB_SA_SB_PNS_15floating_traitsIS7_E6data_tEPKSE_.has_recursion, 0
	.set _ZN9rocsparseL17kernel_correctionILi1024ELi2EdiiEEvT3_T2_PKS2_S4_PKS1_PKT1_21rocsparse_index_base_S4_S4_S6_PS7_SA_S4_S4_S6_SB_SA_SB_PNS_15floating_traitsIS7_E6data_tEPKSE_.has_indirect_call, 0
	.section	.AMDGPU.csdata,"",@progbits
; Kernel info:
; codeLenInByte = 3456
; TotalNumSgprs: 53
; NumVgprs: 39
; ScratchSize: 0
; MemoryBound: 1
; FloatMode: 240
; IeeeMode: 1
; LDSByteSize: 4096 bytes/workgroup (compile time only)
; SGPRBlocks: 0
; VGPRBlocks: 4
; NumSGPRsForWavesPerEU: 53
; NumVGPRsForWavesPerEU: 39
; Occupancy: 16
; WaveLimiterHint : 1
; COMPUTE_PGM_RSRC2:SCRATCH_EN: 0
; COMPUTE_PGM_RSRC2:USER_SGPR: 6
; COMPUTE_PGM_RSRC2:TRAP_HANDLER: 0
; COMPUTE_PGM_RSRC2:TGID_X_EN: 1
; COMPUTE_PGM_RSRC2:TGID_Y_EN: 0
; COMPUTE_PGM_RSRC2:TGID_Z_EN: 0
; COMPUTE_PGM_RSRC2:TIDIG_COMP_CNT: 0
	.section	.text._ZN9rocsparseL17kernel_correctionILi1024ELi4EdiiEEvT3_T2_PKS2_S4_PKS1_PKT1_21rocsparse_index_base_S4_S4_S6_PS7_SA_S4_S4_S6_SB_SA_SB_PNS_15floating_traitsIS7_E6data_tEPKSE_,"axG",@progbits,_ZN9rocsparseL17kernel_correctionILi1024ELi4EdiiEEvT3_T2_PKS2_S4_PKS1_PKT1_21rocsparse_index_base_S4_S4_S6_PS7_SA_S4_S4_S6_SB_SA_SB_PNS_15floating_traitsIS7_E6data_tEPKSE_,comdat
	.globl	_ZN9rocsparseL17kernel_correctionILi1024ELi4EdiiEEvT3_T2_PKS2_S4_PKS1_PKT1_21rocsparse_index_base_S4_S4_S6_PS7_SA_S4_S4_S6_SB_SA_SB_PNS_15floating_traitsIS7_E6data_tEPKSE_ ; -- Begin function _ZN9rocsparseL17kernel_correctionILi1024ELi4EdiiEEvT3_T2_PKS2_S4_PKS1_PKT1_21rocsparse_index_base_S4_S4_S6_PS7_SA_S4_S4_S6_SB_SA_SB_PNS_15floating_traitsIS7_E6data_tEPKSE_
	.p2align	8
	.type	_ZN9rocsparseL17kernel_correctionILi1024ELi4EdiiEEvT3_T2_PKS2_S4_PKS1_PKT1_21rocsparse_index_base_S4_S4_S6_PS7_SA_S4_S4_S6_SB_SA_SB_PNS_15floating_traitsIS7_E6data_tEPKSE_,@function
_ZN9rocsparseL17kernel_correctionILi1024ELi4EdiiEEvT3_T2_PKS2_S4_PKS1_PKT1_21rocsparse_index_base_S4_S4_S6_PS7_SA_S4_S4_S6_SB_SA_SB_PNS_15floating_traitsIS7_E6data_tEPKSE_: ; @_ZN9rocsparseL17kernel_correctionILi1024ELi4EdiiEEvT3_T2_PKS2_S4_PKS1_PKT1_21rocsparse_index_base_S4_S4_S6_PS7_SA_S4_S4_S6_SB_SA_SB_PNS_15floating_traitsIS7_E6data_tEPKSE_
; %bb.0:
	s_load_dword s33, s[4:5], 0x0
	v_lshrrev_b32_e32 v22, 2, v0
	s_lshl_b32 s35, s6, 10
	v_mov_b32_e32 v3, 0
	v_and_b32_e32 v23, 3, v0
	v_mov_b32_e32 v4, 0
	v_or_b32_e32 v1, s35, v22
	s_mov_b32 s3, exec_lo
	s_waitcnt lgkmcnt(0)
	v_cmpx_gt_i32_e64 s33, v1
	s_cbranch_execz .LBB23_64
; %bb.1:
	v_mov_b32_e32 v3, 0
	v_mov_b32_e32 v4, 0
	s_addk_i32 s35, 0x400
	s_mov_b32 s34, exec_lo
	v_cmpx_gt_u32_e64 s35, v1
	s_cbranch_execz .LBB23_63
; %bb.2:
	s_clause 0x6
	s_load_dword s36, s[4:5], 0x28
	s_load_dwordx8 s[8:15], s[4:5], 0x58
	s_load_dwordx8 s[16:23], s[4:5], 0x30
	;; [unrolled: 1-line block ×3, first 2 shown]
	s_load_dword s37, s[4:5], 0x50
	s_load_dwordx2 s[6:7], s[4:5], 0x80
	s_load_dword s38, s[4:5], 0x78
	v_mov_b32_e32 v3, 0
	v_mov_b32_e32 v4, 0
	;; [unrolled: 1-line block ×3, first 2 shown]
	s_mov_b32 s39, 0
	s_waitcnt lgkmcnt(0)
	v_subrev_nc_u32_e32 v24, s36, v23
	s_branch .LBB23_6
.LBB23_3:                               ;   in Loop: Header=BB23_6 Depth=1
	s_or_b32 exec_lo, exec_lo, s42
.LBB23_4:                               ;   in Loop: Header=BB23_6 Depth=1
	s_or_b32 exec_lo, exec_lo, s41
.LBB23_5:                               ;   in Loop: Header=BB23_6 Depth=1
	s_or_b32 exec_lo, exec_lo, s40
	v_add_nc_u32_e32 v1, 0x100, v1
	v_cmp_le_u32_e32 vcc_lo, s35, v1
	s_or_b32 s39, vcc_lo, s39
	s_andn2_b32 exec_lo, exec_lo, s39
	s_cbranch_execz .LBB23_62
.LBB23_6:                               ; =>This Loop Header: Depth=1
                                        ;     Child Loop BB23_10 Depth 2
                                        ;       Child Loop BB23_14 Depth 3
                                        ;       Child Loop BB23_27 Depth 3
	;; [unrolled: 1-line block ×5, first 2 shown]
	s_mov_b32 s40, exec_lo
	v_cmpx_gt_i32_e64 s33, v1
	s_cbranch_execz .LBB23_5
; %bb.7:                                ;   in Loop: Header=BB23_6 Depth=1
	v_ashrrev_i32_e32 v2, 31, v1
	s_mov_b32 s41, exec_lo
	v_lshlrev_b64 v[8:9], 2, v[1:2]
	v_add_co_u32 v10, vcc_lo, s24, v8
	v_add_co_ci_u32_e64 v11, null, s25, v9, vcc_lo
	v_add_co_u32 v12, vcc_lo, s26, v8
	v_add_co_ci_u32_e64 v13, null, s27, v9, vcc_lo
	global_load_dword v2, v[10:11], off
	global_load_dword v5, v[12:13], off
	s_waitcnt vmcnt(1)
	v_add_nc_u32_e32 v7, v24, v2
	s_waitcnt vmcnt(0)
	v_subrev_nc_u32_e32 v2, s36, v5
	v_cmpx_lt_i32_e64 v7, v2
	s_cbranch_execz .LBB23_4
; %bb.8:                                ;   in Loop: Header=BB23_6 Depth=1
	v_add_co_u32 v10, vcc_lo, s16, v8
	v_add_co_ci_u32_e64 v11, null, s17, v9, vcc_lo
	v_add_co_u32 v8, vcc_lo, s18, v8
	v_add_co_ci_u32_e64 v9, null, s19, v9, vcc_lo
	global_load_dword v5, v[10:11], off
	s_mov_b32 s42, 0
	global_load_dword v8, v[8:9], off
	s_waitcnt vmcnt(1)
	v_subrev_nc_u32_e32 v9, s37, v5
	s_waitcnt vmcnt(0)
	v_sub_nc_u32_e32 v25, v8, v5
	v_ashrrev_i32_e32 v10, 31, v9
	v_cmp_lt_i32_e64 s0, 0, v25
	v_lshlrev_b64 v[11:12], 2, v[9:10]
	v_lshlrev_b64 v[13:14], 3, v[9:10]
	v_add_co_u32 v26, vcc_lo, s20, v11
	v_add_co_ci_u32_e64 v27, null, s21, v12, vcc_lo
	v_add_co_u32 v28, vcc_lo, s22, v13
	v_add_co_ci_u32_e64 v29, null, s23, v14, vcc_lo
	s_branch .LBB23_10
.LBB23_9:                               ;   in Loop: Header=BB23_10 Depth=2
	s_or_b32 exec_lo, exec_lo, s2
	v_add_f64 v[10:11], v[16:17], -v[10:11]
	v_add_nc_u32_e32 v7, 4, v7
	v_cmp_ge_i32_e32 vcc_lo, v7, v2
	v_cmp_nlg_f64_e64 s1, 0x7ff00000, |v[10:11]|
	v_cmp_gt_f64_e64 s2, v[3:4], |v[10:11]|
	v_and_b32_e32 v5, 0x7fffffff, v11
	s_or_b32 s1, s1, s2
	s_or_b32 s42, vcc_lo, s42
	v_cndmask_b32_e64 v4, v5, v4, s1
	v_cndmask_b32_e64 v3, v10, v3, s1
	s_andn2_b32 exec_lo, exec_lo, s42
	s_cbranch_execz .LBB23_3
.LBB23_10:                              ;   Parent Loop BB23_6 Depth=1
                                        ; =>  This Loop Header: Depth=2
                                        ;       Child Loop BB23_14 Depth 3
                                        ;       Child Loop BB23_27 Depth 3
	;; [unrolled: 1-line block ×5, first 2 shown]
	v_ashrrev_i32_e32 v8, 31, v7
	v_lshlrev_b64 v[10:11], 2, v[7:8]
	v_add_co_u32 v10, vcc_lo, s28, v10
	v_add_co_ci_u32_e64 v11, null, s29, v11, vcc_lo
	global_load_dword v5, v[10:11], off
	s_waitcnt vmcnt(0)
	v_subrev_nc_u32_e32 v12, s36, v5
	v_ashrrev_i32_e32 v13, 31, v12
	v_lshlrev_b64 v[10:11], 2, v[12:13]
	v_add_co_u32 v14, vcc_lo, s8, v10
	v_add_co_ci_u32_e64 v15, null, s9, v11, vcc_lo
	v_add_co_u32 v10, vcc_lo, s10, v10
	v_add_co_ci_u32_e64 v11, null, s11, v11, vcc_lo
	global_load_dword v5, v[14:15], off
	global_load_dword v16, v[10:11], off
	v_mov_b32_e32 v15, 0
	v_mov_b32_e32 v10, 0
	;; [unrolled: 1-line block ×3, first 2 shown]
	s_waitcnt vmcnt(1)
	v_subrev_nc_u32_e32 v14, s38, v5
	s_waitcnt vmcnt(0)
	v_sub_nc_u32_e32 v30, v16, v5
	v_mov_b32_e32 v5, v15
	s_and_saveexec_b32 s2, s0
	s_cbranch_execz .LBB23_18
; %bb.11:                               ;   in Loop: Header=BB23_10 Depth=2
	v_ashrrev_i32_e32 v15, 31, v14
	v_mov_b32_e32 v10, 0
	v_mov_b32_e32 v11, 0
	;; [unrolled: 1-line block ×3, first 2 shown]
	s_mov_b32 s43, 0
	v_lshlrev_b64 v[17:18], 2, v[14:15]
	v_lshlrev_b64 v[15:16], 3, v[14:15]
                                        ; implicit-def: $sgpr44
	v_add_co_u32 v17, vcc_lo, s12, v17
	v_add_co_ci_u32_e64 v18, null, s13, v18, vcc_lo
	v_add_co_u32 v19, vcc_lo, s14, v15
	v_add_co_ci_u32_e64 v20, null, s15, v16, vcc_lo
	v_mov_b32_e32 v15, 0
	s_branch .LBB23_14
.LBB23_12:                              ;   in Loop: Header=BB23_14 Depth=3
	s_or_b32 exec_lo, exec_lo, s1
	v_cmp_le_i32_e32 vcc_lo, v21, v31
	v_cmp_ge_i32_e64 s1, v21, v31
	v_add_co_ci_u32_e64 v5, null, 0, v5, vcc_lo
	v_add_co_ci_u32_e64 v15, null, 0, v15, s1
	s_andn2_b32 s1, s44, exec_lo
	v_cmp_ge_i32_e32 vcc_lo, v5, v25
	s_and_b32 s44, vcc_lo, exec_lo
	s_or_b32 s44, s1, s44
.LBB23_13:                              ;   in Loop: Header=BB23_14 Depth=3
	s_or_b32 exec_lo, exec_lo, s45
	s_and_b32 s1, exec_lo, s44
	s_or_b32 s43, s1, s43
	s_andn2_b32 exec_lo, exec_lo, s43
	s_cbranch_execz .LBB23_17
.LBB23_14:                              ;   Parent Loop BB23_6 Depth=1
                                        ;     Parent Loop BB23_10 Depth=2
                                        ; =>    This Inner Loop Header: Depth=3
	s_or_b32 s44, s44, exec_lo
	s_mov_b32 s45, exec_lo
	v_cmpx_lt_i32_e64 v15, v30
	s_cbranch_execz .LBB23_13
; %bb.15:                               ;   in Loop: Header=BB23_14 Depth=3
	v_mov_b32_e32 v16, v6
	v_lshlrev_b64 v[31:32], 2, v[5:6]
	s_mov_b32 s1, exec_lo
	v_lshlrev_b64 v[33:34], 2, v[15:16]
	v_add_co_u32 v31, vcc_lo, v26, v31
	v_add_co_ci_u32_e64 v32, null, v27, v32, vcc_lo
	v_add_co_u32 v33, vcc_lo, v17, v33
	v_add_co_ci_u32_e64 v34, null, v18, v34, vcc_lo
	global_load_dword v21, v[31:32], off
	global_load_dword v31, v[33:34], off
	s_waitcnt vmcnt(1)
	v_subrev_nc_u32_e32 v21, s37, v21
	s_waitcnt vmcnt(0)
	v_subrev_nc_u32_e32 v31, s38, v31
	v_cmpx_eq_u32_e64 v21, v31
	s_cbranch_execz .LBB23_12
; %bb.16:                               ;   in Loop: Header=BB23_14 Depth=3
	v_lshlrev_b64 v[32:33], 3, v[5:6]
	v_lshlrev_b64 v[34:35], 3, v[15:16]
	v_add_co_u32 v32, vcc_lo, v28, v32
	v_add_co_ci_u32_e64 v33, null, v29, v33, vcc_lo
	v_add_co_u32 v34, vcc_lo, v19, v34
	v_add_co_ci_u32_e64 v35, null, v20, v35, vcc_lo
	global_load_dwordx2 v[32:33], v[32:33], off
	global_load_dwordx2 v[34:35], v[34:35], off
	s_waitcnt vmcnt(0)
	v_fma_f64 v[10:11], v[32:33], v[34:35], v[10:11]
	s_branch .LBB23_12
.LBB23_17:                              ;   in Loop: Header=BB23_10 Depth=2
	s_or_b32 exec_lo, exec_lo, s43
.LBB23_18:                              ;   in Loop: Header=BB23_10 Depth=2
	s_or_b32 exec_lo, exec_lo, s2
	v_lshlrev_b64 v[16:17], 3, v[7:8]
	v_cmp_le_i32_e64 s1, v1, v12
	s_mov_b32 s2, exec_lo
	v_add_co_u32 v16, vcc_lo, s30, v16
	v_add_co_ci_u32_e64 v17, null, s31, v17, vcc_lo
	global_load_dwordx2 v[16:17], v[16:17], off
	s_waitcnt vmcnt(0)
	v_add_f64 v[18:19], v[16:17], -v[10:11]
	v_cmpx_gt_i32_e64 v1, v12
	s_cbranch_execz .LBB23_20
; %bb.19:                               ;   in Loop: Header=BB23_10 Depth=2
	v_lshlrev_b64 v[20:21], 3, v[12:13]
	v_add_co_u32 v20, vcc_lo, s6, v20
	v_add_co_ci_u32_e64 v21, null, s7, v21, vcc_lo
	global_load_dwordx2 v[20:21], v[20:21], off
	s_waitcnt vmcnt(0)
	v_div_scale_f64 v[31:32], null, v[20:21], v[20:21], v[18:19]
	v_rcp_f64_e32 v[33:34], v[31:32]
	v_fma_f64 v[35:36], -v[31:32], v[33:34], 1.0
	v_fma_f64 v[33:34], v[33:34], v[35:36], v[33:34]
	v_fma_f64 v[35:36], -v[31:32], v[33:34], 1.0
	v_fma_f64 v[33:34], v[33:34], v[35:36], v[33:34]
	v_div_scale_f64 v[35:36], vcc_lo, v[18:19], v[20:21], v[18:19]
	v_mul_f64 v[37:38], v[35:36], v[33:34]
	v_fma_f64 v[31:32], -v[31:32], v[37:38], v[35:36]
	v_div_fmas_f64 v[31:32], v[31:32], v[33:34], v[37:38]
	v_div_fixup_f64 v[18:19], v[31:32], v[20:21], v[18:19]
.LBB23_20:                              ;   in Loop: Header=BB23_10 Depth=2
	s_or_b32 exec_lo, exec_lo, s2
	s_mov_b32 s43, exec_lo
	v_cmp_lt_i32_e32 vcc_lo, v15, v30
	v_cmpx_ge_i32_e64 v15, v30
	s_xor_b32 s43, exec_lo, s43
	s_cbranch_execnz .LBB23_24
; %bb.21:                               ;   in Loop: Header=BB23_10 Depth=2
	s_andn2_saveexec_b32 s43, s43
	s_cbranch_execnz .LBB23_33
.LBB23_22:                              ;   in Loop: Header=BB23_10 Depth=2
	s_or_b32 exec_lo, exec_lo, s43
	s_mov_b32 s43, exec_lo
	v_cmpx_eq_u32_e64 v1, v12
	s_cbranch_execnz .LBB23_40
.LBB23_23:                              ;   in Loop: Header=BB23_10 Depth=2
	s_or_b32 exec_lo, exec_lo, s43
	v_cmp_class_f64_e64 s43, v[18:19], 0x1f8
	s_and_saveexec_b32 s2, s43
	s_cbranch_execz .LBB23_9
	s_branch .LBB23_41
.LBB23_24:                              ;   in Loop: Header=BB23_10 Depth=2
	s_mov_b32 s44, exec_lo
	v_cmpx_lt_i32_e64 v5, v25
	s_cbranch_execz .LBB23_32
; %bb.25:                               ;   in Loop: Header=BB23_10 Depth=2
	v_mov_b32_e32 v8, v5
	s_mov_b32 s45, 0
                                        ; implicit-def: $sgpr46
                                        ; implicit-def: $sgpr48
                                        ; implicit-def: $sgpr47
	s_inst_prefetch 0x1
	s_branch .LBB23_27
	.p2align	6
.LBB23_26:                              ;   in Loop: Header=BB23_27 Depth=3
	s_or_b32 exec_lo, exec_lo, s49
	s_and_b32 s2, exec_lo, s48
	s_or_b32 s45, s2, s45
	s_andn2_b32 s2, s46, exec_lo
	s_and_b32 s46, s47, exec_lo
	s_or_b32 s46, s2, s46
	s_andn2_b32 exec_lo, exec_lo, s45
	s_cbranch_execz .LBB23_29
.LBB23_27:                              ;   Parent Loop BB23_6 Depth=1
                                        ;     Parent Loop BB23_10 Depth=2
                                        ; =>    This Inner Loop Header: Depth=3
	v_add_nc_u32_e32 v20, v9, v8
	s_or_b32 s47, s47, exec_lo
	s_or_b32 s48, s48, exec_lo
	s_mov_b32 s49, exec_lo
	v_ashrrev_i32_e32 v21, 31, v20
	v_lshlrev_b64 v[31:32], 2, v[20:21]
	v_add_co_u32 v31, s2, s20, v31
	v_add_co_ci_u32_e64 v32, null, s21, v32, s2
	global_load_dword v31, v[31:32], off
	s_waitcnt vmcnt(0)
	v_subrev_nc_u32_e32 v31, s37, v31
	v_cmpx_ne_u32_e64 v31, v12
	s_cbranch_execz .LBB23_26
; %bb.28:                               ;   in Loop: Header=BB23_27 Depth=3
	v_add_nc_u32_e32 v8, 1, v8
	s_andn2_b32 s48, s48, exec_lo
	s_andn2_b32 s47, s47, exec_lo
	v_cmp_ge_i32_e64 s2, v8, v25
	s_and_b32 s2, s2, exec_lo
	s_or_b32 s48, s48, s2
	s_branch .LBB23_26
.LBB23_29:                              ;   in Loop: Header=BB23_10 Depth=2
	s_inst_prefetch 0x2
	s_or_b32 exec_lo, exec_lo, s45
	s_and_saveexec_b32 s2, s46
	s_xor_b32 s45, exec_lo, s2
	s_cbranch_execz .LBB23_31
; %bb.30:                               ;   in Loop: Header=BB23_10 Depth=2
	v_lshlrev_b64 v[20:21], 3, v[20:21]
	v_lshlrev_b64 v[31:32], 3, v[12:13]
	v_add_co_u32 v20, s2, s22, v20
	v_add_co_ci_u32_e64 v21, null, s23, v21, s2
	v_add_co_u32 v31, s2, s6, v31
	v_add_co_ci_u32_e64 v32, null, s7, v32, s2
	global_load_dwordx2 v[20:21], v[20:21], off
	global_load_dwordx2 v[31:32], v[31:32], off
	s_waitcnt vmcnt(0)
	v_fma_f64 v[10:11], v[20:21], v[31:32], v[10:11]
.LBB23_31:                              ;   in Loop: Header=BB23_10 Depth=2
	s_or_b32 exec_lo, exec_lo, s45
.LBB23_32:                              ;   in Loop: Header=BB23_10 Depth=2
	s_or_b32 exec_lo, exec_lo, s44
	s_andn2_saveexec_b32 s43, s43
	s_cbranch_execz .LBB23_22
.LBB23_33:                              ;   in Loop: Header=BB23_10 Depth=2
	v_mov_b32_e32 v8, v15
	s_mov_b32 s44, 0
                                        ; implicit-def: $sgpr45
                                        ; implicit-def: $sgpr47
                                        ; implicit-def: $sgpr46
	s_inst_prefetch 0x1
	s_branch .LBB23_35
	.p2align	6
.LBB23_34:                              ;   in Loop: Header=BB23_35 Depth=3
	s_or_b32 exec_lo, exec_lo, s48
	s_and_b32 s2, exec_lo, s47
	s_or_b32 s44, s2, s44
	s_andn2_b32 s2, s45, exec_lo
	s_and_b32 s45, s46, exec_lo
	s_or_b32 s45, s2, s45
	s_andn2_b32 exec_lo, exec_lo, s44
	s_cbranch_execz .LBB23_37
.LBB23_35:                              ;   Parent Loop BB23_6 Depth=1
                                        ;     Parent Loop BB23_10 Depth=2
                                        ; =>    This Inner Loop Header: Depth=3
	v_add_nc_u32_e32 v20, v14, v8
	s_or_b32 s46, s46, exec_lo
	s_or_b32 s47, s47, exec_lo
	s_mov_b32 s48, exec_lo
	v_ashrrev_i32_e32 v21, 31, v20
	v_lshlrev_b64 v[31:32], 2, v[20:21]
	v_add_co_u32 v31, s2, s12, v31
	v_add_co_ci_u32_e64 v32, null, s13, v32, s2
	global_load_dword v31, v[31:32], off
	s_waitcnt vmcnt(0)
	v_subrev_nc_u32_e32 v31, s38, v31
	v_cmpx_ne_u32_e64 v31, v1
	s_cbranch_execz .LBB23_34
; %bb.36:                               ;   in Loop: Header=BB23_35 Depth=3
	v_add_nc_u32_e32 v8, 1, v8
	s_andn2_b32 s47, s47, exec_lo
	s_andn2_b32 s46, s46, exec_lo
	v_cmp_ge_i32_e64 s2, v8, v30
	s_and_b32 s2, s2, exec_lo
	s_or_b32 s47, s47, s2
	s_branch .LBB23_34
.LBB23_37:                              ;   in Loop: Header=BB23_10 Depth=2
	s_inst_prefetch 0x2
	s_or_b32 exec_lo, exec_lo, s44
	s_and_saveexec_b32 s2, s45
	s_xor_b32 s44, exec_lo, s2
	s_cbranch_execz .LBB23_39
; %bb.38:                               ;   in Loop: Header=BB23_10 Depth=2
	v_lshlrev_b64 v[20:21], 3, v[20:21]
	v_add_co_u32 v20, s2, s14, v20
	v_add_co_ci_u32_e64 v21, null, s15, v21, s2
	global_load_dwordx2 v[20:21], v[20:21], off
	s_waitcnt vmcnt(0)
	v_add_f64 v[10:11], v[10:11], v[20:21]
.LBB23_39:                              ;   in Loop: Header=BB23_10 Depth=2
	s_or_b32 exec_lo, exec_lo, s44
	s_or_b32 exec_lo, exec_lo, s43
	s_mov_b32 s43, exec_lo
	v_cmpx_eq_u32_e64 v1, v12
	s_cbranch_execz .LBB23_23
.LBB23_40:                              ;   in Loop: Header=BB23_10 Depth=2
	v_lshlrev_b64 v[20:21], 3, v[12:13]
	v_add_co_u32 v20, s2, s6, v20
	v_add_co_ci_u32_e64 v21, null, s7, v21, s2
	global_load_dwordx2 v[20:21], v[20:21], off
	s_waitcnt vmcnt(0)
	v_add_f64 v[10:11], v[10:11], v[20:21]
	s_or_b32 exec_lo, exec_lo, s43
	v_cmp_class_f64_e64 s43, v[18:19], 0x1f8
	s_and_saveexec_b32 s2, s43
	s_cbranch_execz .LBB23_9
.LBB23_41:                              ;   in Loop: Header=BB23_10 Depth=2
	s_and_saveexec_b32 s43, s1
	s_xor_b32 s43, exec_lo, s43
	s_cbranch_execz .LBB23_54
; %bb.42:                               ;   in Loop: Header=BB23_10 Depth=2
	s_mov_b32 s44, exec_lo
	v_cmpx_ge_i32_e64 v1, v12
	s_xor_b32 s44, exec_lo, s44
	s_cbranch_execz .LBB23_44
; %bb.43:                               ;   in Loop: Header=BB23_10 Depth=2
	v_lshlrev_b64 v[12:13], 3, v[12:13]
                                        ; implicit-def: $vgpr15
                                        ; implicit-def: $vgpr14
                                        ; implicit-def: $vgpr30
	v_add_co_u32 v12, s1, s6, v12
	v_add_co_ci_u32_e64 v13, null, s7, v13, s1
	global_store_dwordx2 v[12:13], v[18:19], off
                                        ; implicit-def: $vgpr18_vgpr19
.LBB23_44:                              ;   in Loop: Header=BB23_10 Depth=2
	s_andn2_saveexec_b32 s1, s44
	s_cbranch_execz .LBB23_53
; %bb.45:                               ;   in Loop: Header=BB23_10 Depth=2
	s_and_saveexec_b32 s44, vcc_lo
	s_cbranch_execz .LBB23_52
; %bb.46:                               ;   in Loop: Header=BB23_10 Depth=2
	s_mov_b32 s45, 0
                                        ; implicit-def: $sgpr46
                                        ; implicit-def: $sgpr48
                                        ; implicit-def: $sgpr47
	s_inst_prefetch 0x1
	s_branch .LBB23_48
	.p2align	6
.LBB23_47:                              ;   in Loop: Header=BB23_48 Depth=3
	s_or_b32 exec_lo, exec_lo, s49
	s_and_b32 s49, exec_lo, s48
	s_or_b32 s45, s49, s45
	s_andn2_b32 s46, s46, exec_lo
	s_and_b32 s49, s47, exec_lo
	s_or_b32 s46, s46, s49
	s_andn2_b32 exec_lo, exec_lo, s45
	s_cbranch_execz .LBB23_50
.LBB23_48:                              ;   Parent Loop BB23_6 Depth=1
                                        ;     Parent Loop BB23_10 Depth=2
                                        ; =>    This Inner Loop Header: Depth=3
	v_add_nc_u32_e32 v12, v14, v15
	s_or_b32 s47, s47, exec_lo
	s_or_b32 s48, s48, exec_lo
	s_mov_b32 s49, exec_lo
	v_ashrrev_i32_e32 v13, 31, v12
	v_lshlrev_b64 v[20:21], 2, v[12:13]
	v_add_co_u32 v20, vcc_lo, s12, v20
	v_add_co_ci_u32_e64 v21, null, s13, v21, vcc_lo
	global_load_dword v5, v[20:21], off
	s_waitcnt vmcnt(0)
	v_subrev_nc_u32_e32 v5, s38, v5
	v_cmpx_ne_u32_e64 v5, v1
	s_cbranch_execz .LBB23_47
; %bb.49:                               ;   in Loop: Header=BB23_48 Depth=3
	v_add_nc_u32_e32 v15, 1, v15
	s_andn2_b32 s48, s48, exec_lo
	s_andn2_b32 s47, s47, exec_lo
	v_cmp_ge_i32_e32 vcc_lo, v15, v30
	s_and_b32 s50, vcc_lo, exec_lo
	s_or_b32 s48, s48, s50
	s_branch .LBB23_47
.LBB23_50:                              ;   in Loop: Header=BB23_10 Depth=2
	s_inst_prefetch 0x2
	s_or_b32 exec_lo, exec_lo, s45
	s_and_saveexec_b32 s45, s46
	s_xor_b32 s45, exec_lo, s45
	s_cbranch_execz .LBB23_52
; %bb.51:                               ;   in Loop: Header=BB23_10 Depth=2
	v_lshlrev_b64 v[12:13], 3, v[12:13]
	v_add_co_u32 v12, vcc_lo, s14, v12
	v_add_co_ci_u32_e64 v13, null, s15, v13, vcc_lo
	global_store_dwordx2 v[12:13], v[18:19], off
.LBB23_52:                              ;   in Loop: Header=BB23_10 Depth=2
	s_or_b32 exec_lo, exec_lo, s44
.LBB23_53:                              ;   in Loop: Header=BB23_10 Depth=2
	s_or_b32 exec_lo, exec_lo, s1
                                        ; implicit-def: $vgpr18_vgpr19
                                        ; implicit-def: $vgpr12_vgpr13
.LBB23_54:                              ;   in Loop: Header=BB23_10 Depth=2
	s_andn2_saveexec_b32 s1, s43
	s_cbranch_execz .LBB23_9
; %bb.55:                               ;   in Loop: Header=BB23_10 Depth=2
	v_cmp_lt_i32_e32 vcc_lo, v5, v25
	s_and_b32 exec_lo, exec_lo, vcc_lo
	s_cbranch_execz .LBB23_9
; %bb.56:                               ;   in Loop: Header=BB23_10 Depth=2
	s_mov_b32 s1, 0
                                        ; implicit-def: $sgpr43
                                        ; implicit-def: $sgpr45
                                        ; implicit-def: $sgpr44
	s_inst_prefetch 0x1
	s_branch .LBB23_58
	.p2align	6
.LBB23_57:                              ;   in Loop: Header=BB23_58 Depth=3
	s_or_b32 exec_lo, exec_lo, s46
	s_and_b32 s46, exec_lo, s45
	s_or_b32 s1, s46, s1
	s_andn2_b32 s43, s43, exec_lo
	s_and_b32 s46, s44, exec_lo
	s_or_b32 s43, s43, s46
	s_andn2_b32 exec_lo, exec_lo, s1
	s_cbranch_execz .LBB23_60
.LBB23_58:                              ;   Parent Loop BB23_6 Depth=1
                                        ;     Parent Loop BB23_10 Depth=2
                                        ; =>    This Inner Loop Header: Depth=3
	v_add_nc_u32_e32 v13, v9, v5
	s_or_b32 s44, s44, exec_lo
	s_or_b32 s45, s45, exec_lo
	s_mov_b32 s46, exec_lo
	v_ashrrev_i32_e32 v14, 31, v13
	v_lshlrev_b64 v[20:21], 2, v[13:14]
	v_add_co_u32 v20, vcc_lo, s20, v20
	v_add_co_ci_u32_e64 v21, null, s21, v21, vcc_lo
	global_load_dword v8, v[20:21], off
	s_waitcnt vmcnt(0)
	v_subrev_nc_u32_e32 v8, s37, v8
	v_cmpx_ne_u32_e64 v8, v12
	s_cbranch_execz .LBB23_57
; %bb.59:                               ;   in Loop: Header=BB23_58 Depth=3
	v_add_nc_u32_e32 v5, 1, v5
	s_andn2_b32 s45, s45, exec_lo
	s_andn2_b32 s44, s44, exec_lo
	v_cmp_ge_i32_e32 vcc_lo, v5, v25
	s_and_b32 s47, vcc_lo, exec_lo
	s_or_b32 s45, s45, s47
	s_branch .LBB23_57
.LBB23_60:                              ;   in Loop: Header=BB23_10 Depth=2
	s_inst_prefetch 0x2
	s_or_b32 exec_lo, exec_lo, s1
	s_and_saveexec_b32 s1, s43
	s_xor_b32 s1, exec_lo, s1
	s_cbranch_execz .LBB23_9
; %bb.61:                               ;   in Loop: Header=BB23_10 Depth=2
	v_lshlrev_b64 v[12:13], 3, v[13:14]
	v_add_co_u32 v12, vcc_lo, s22, v12
	v_add_co_ci_u32_e64 v13, null, s23, v13, vcc_lo
	global_store_dwordx2 v[12:13], v[18:19], off
	s_branch .LBB23_9
.LBB23_62:
	s_or_b32 exec_lo, exec_lo, s39
.LBB23_63:
	s_or_b32 exec_lo, exec_lo, s34
.LBB23_64:
	s_or_b32 exec_lo, exec_lo, s3
	v_mbcnt_lo_u32_b32 v5, -1, 0
	v_xor_b32_e32 v1, 2, v5
	v_xor_b32_e32 v6, 1, v5
	v_cmp_gt_i32_e32 vcc_lo, 32, v1
	v_cmp_gt_i32_e64 s0, 32, v6
	v_cndmask_b32_e32 v1, v5, v1, vcc_lo
	v_cndmask_b32_e64 v5, v5, v6, s0
	s_mov_b32 s0, exec_lo
	v_lshlrev_b32_e32 v2, 2, v1
	v_lshlrev_b32_e32 v5, 2, v5
	ds_bpermute_b32 v1, v2, v3
	ds_bpermute_b32 v2, v2, v4
	s_waitcnt lgkmcnt(0)
	v_cmp_lt_f64_e32 vcc_lo, v[3:4], v[1:2]
	v_cndmask_b32_e32 v2, v4, v2, vcc_lo
	v_cndmask_b32_e32 v1, v3, v1, vcc_lo
	ds_bpermute_b32 v3, v5, v1
	ds_bpermute_b32 v5, v5, v2
	v_cmpx_eq_u32_e32 3, v23
	s_cbranch_execz .LBB23_66
; %bb.65:
	s_waitcnt lgkmcnt(0)
	v_mov_b32_e32 v4, v5
	v_cmp_lt_f64_e32 vcc_lo, v[1:2], v[3:4]
	v_lshlrev_b32_e32 v4, 3, v22
	v_cndmask_b32_e32 v2, v2, v5, vcc_lo
	v_cndmask_b32_e32 v1, v1, v3, vcc_lo
	ds_write_b64 v4, v[1:2]
.LBB23_66:
	s_or_b32 exec_lo, exec_lo, s0
	v_lshlrev_b32_e32 v1, 3, v0
	s_mov_b32 s0, exec_lo
	s_waitcnt lgkmcnt(0)
	s_waitcnt_vscnt null, 0x0
	s_barrier
	buffer_gl0_inv
	v_cmpx_gt_u32_e32 0x80, v0
	s_cbranch_execz .LBB23_68
; %bb.67:
	ds_read2st64_b64 v[2:5], v1 offset1:2
	s_waitcnt lgkmcnt(0)
	v_cmp_lt_f64_e32 vcc_lo, v[2:3], v[4:5]
	v_cndmask_b32_e32 v3, v3, v5, vcc_lo
	v_cndmask_b32_e32 v2, v2, v4, vcc_lo
	ds_write_b64 v1, v[2:3]
.LBB23_68:
	s_or_b32 exec_lo, exec_lo, s0
	s_mov_b32 s0, exec_lo
	s_waitcnt lgkmcnt(0)
	s_barrier
	buffer_gl0_inv
	v_cmpx_gt_u32_e32 64, v0
	s_cbranch_execz .LBB23_70
; %bb.69:
	ds_read2st64_b64 v[2:5], v1 offset1:1
	s_waitcnt lgkmcnt(0)
	v_cmp_lt_f64_e32 vcc_lo, v[2:3], v[4:5]
	v_cndmask_b32_e32 v3, v3, v5, vcc_lo
	v_cndmask_b32_e32 v2, v2, v4, vcc_lo
	ds_write_b64 v1, v[2:3]
.LBB23_70:
	s_or_b32 exec_lo, exec_lo, s0
	s_mov_b32 s0, exec_lo
	s_waitcnt lgkmcnt(0)
	s_barrier
	buffer_gl0_inv
	v_cmpx_gt_u32_e32 32, v0
	s_cbranch_execz .LBB23_72
; %bb.71:
	ds_read2_b64 v[2:5], v1 offset1:32
	s_waitcnt lgkmcnt(0)
	v_cmp_lt_f64_e32 vcc_lo, v[2:3], v[4:5]
	v_cndmask_b32_e32 v3, v3, v5, vcc_lo
	v_cndmask_b32_e32 v2, v2, v4, vcc_lo
	ds_write_b64 v1, v[2:3]
.LBB23_72:
	s_or_b32 exec_lo, exec_lo, s0
	s_mov_b32 s0, exec_lo
	s_waitcnt lgkmcnt(0)
	s_barrier
	buffer_gl0_inv
	v_cmpx_gt_u32_e32 16, v0
	s_cbranch_execz .LBB23_74
; %bb.73:
	ds_read2_b64 v[2:5], v1 offset1:16
	s_waitcnt lgkmcnt(0)
	v_cmp_lt_f64_e32 vcc_lo, v[2:3], v[4:5]
	v_cndmask_b32_e32 v3, v3, v5, vcc_lo
	v_cndmask_b32_e32 v2, v2, v4, vcc_lo
	ds_write_b64 v1, v[2:3]
.LBB23_74:
	;; [unrolled: 15-line block ×5, first 2 shown]
	s_or_b32 exec_lo, exec_lo, s0
	v_cmp_eq_u32_e32 vcc_lo, 0, v0
	s_waitcnt lgkmcnt(0)
	s_barrier
	buffer_gl0_inv
	s_and_saveexec_b32 s1, vcc_lo
	s_cbranch_execz .LBB23_82
; %bb.81:
	v_mov_b32_e32 v4, 0
	ds_read_b128 v[0:3], v4
	s_waitcnt lgkmcnt(0)
	v_cmp_lt_f64_e64 s0, v[0:1], v[2:3]
	v_cndmask_b32_e64 v1, v1, v3, s0
	v_cndmask_b32_e64 v0, v0, v2, s0
	ds_write_b64 v4, v[0:1]
.LBB23_82:
	s_or_b32 exec_lo, exec_lo, s1
	s_waitcnt lgkmcnt(0)
	s_barrier
	buffer_gl0_inv
	s_and_saveexec_b32 s0, vcc_lo
	s_cbranch_execz .LBB23_86
; %bb.83:
	v_mbcnt_lo_u32_b32 v0, exec_lo, 0
	s_mov_b32 s6, 0
	v_cmp_eq_u32_e32 vcc_lo, 0, v0
	s_and_b32 exec_lo, exec_lo, vcc_lo
	s_cbranch_execz .LBB23_86
; %bb.84:
	s_load_dwordx4 s[0:3], s[4:5], 0x88
	v_mov_b32_e32 v6, 0
	ds_read_b64 v[0:1], v6
	s_waitcnt lgkmcnt(0)
	s_load_dwordx2 s[2:3], s[2:3], 0x0
	s_waitcnt lgkmcnt(0)
	v_div_scale_f64 v[2:3], null, s[2:3], s[2:3], v[0:1]
	v_rcp_f64_e32 v[4:5], v[2:3]
	v_fma_f64 v[7:8], -v[2:3], v[4:5], 1.0
	v_fma_f64 v[4:5], v[4:5], v[7:8], v[4:5]
	v_fma_f64 v[7:8], -v[2:3], v[4:5], 1.0
	v_fma_f64 v[4:5], v[4:5], v[7:8], v[4:5]
	v_div_scale_f64 v[7:8], vcc_lo, v[0:1], s[2:3], v[0:1]
	v_mul_f64 v[9:10], v[7:8], v[4:5]
	v_fma_f64 v[2:3], -v[2:3], v[9:10], v[7:8]
	v_div_fmas_f64 v[2:3], v[2:3], v[4:5], v[9:10]
	v_div_fixup_f64 v[0:1], v[2:3], s[2:3], v[0:1]
	s_load_dwordx2 s[2:3], s[0:1], 0x0
	s_waitcnt lgkmcnt(0)
	v_mov_b32_e32 v2, s2
	v_max_f64 v[4:5], v[0:1], v[0:1]
	v_mov_b32_e32 v3, s3
.LBB23_85:                              ; =>This Inner Loop Header: Depth=1
	v_max_f64 v[0:1], v[2:3], v[2:3]
	v_max_f64 v[0:1], v[0:1], v[4:5]
	global_atomic_cmpswap_x2 v[0:1], v6, v[0:3], s[0:1] glc
	s_waitcnt vmcnt(0)
	v_cmp_eq_u64_e32 vcc_lo, v[0:1], v[2:3]
	v_mov_b32_e32 v3, v1
	v_mov_b32_e32 v2, v0
	s_or_b32 s6, vcc_lo, s6
	s_andn2_b32 exec_lo, exec_lo, s6
	s_cbranch_execnz .LBB23_85
.LBB23_86:
	s_endpgm
	.section	.rodata,"a",@progbits
	.p2align	6, 0x0
	.amdhsa_kernel _ZN9rocsparseL17kernel_correctionILi1024ELi4EdiiEEvT3_T2_PKS2_S4_PKS1_PKT1_21rocsparse_index_base_S4_S4_S6_PS7_SA_S4_S4_S6_SB_SA_SB_PNS_15floating_traitsIS7_E6data_tEPKSE_
		.amdhsa_group_segment_fixed_size 2048
		.amdhsa_private_segment_fixed_size 0
		.amdhsa_kernarg_size 152
		.amdhsa_user_sgpr_count 6
		.amdhsa_user_sgpr_private_segment_buffer 1
		.amdhsa_user_sgpr_dispatch_ptr 0
		.amdhsa_user_sgpr_queue_ptr 0
		.amdhsa_user_sgpr_kernarg_segment_ptr 1
		.amdhsa_user_sgpr_dispatch_id 0
		.amdhsa_user_sgpr_flat_scratch_init 0
		.amdhsa_user_sgpr_private_segment_size 0
		.amdhsa_wavefront_size32 1
		.amdhsa_uses_dynamic_stack 0
		.amdhsa_system_sgpr_private_segment_wavefront_offset 0
		.amdhsa_system_sgpr_workgroup_id_x 1
		.amdhsa_system_sgpr_workgroup_id_y 0
		.amdhsa_system_sgpr_workgroup_id_z 0
		.amdhsa_system_sgpr_workgroup_info 0
		.amdhsa_system_vgpr_workitem_id 0
		.amdhsa_next_free_vgpr 39
		.amdhsa_next_free_sgpr 51
		.amdhsa_reserve_vcc 1
		.amdhsa_reserve_flat_scratch 0
		.amdhsa_float_round_mode_32 0
		.amdhsa_float_round_mode_16_64 0
		.amdhsa_float_denorm_mode_32 3
		.amdhsa_float_denorm_mode_16_64 3
		.amdhsa_dx10_clamp 1
		.amdhsa_ieee_mode 1
		.amdhsa_fp16_overflow 0
		.amdhsa_workgroup_processor_mode 1
		.amdhsa_memory_ordered 1
		.amdhsa_forward_progress 1
		.amdhsa_shared_vgpr_count 0
		.amdhsa_exception_fp_ieee_invalid_op 0
		.amdhsa_exception_fp_denorm_src 0
		.amdhsa_exception_fp_ieee_div_zero 0
		.amdhsa_exception_fp_ieee_overflow 0
		.amdhsa_exception_fp_ieee_underflow 0
		.amdhsa_exception_fp_ieee_inexact 0
		.amdhsa_exception_int_div_zero 0
	.end_amdhsa_kernel
	.section	.text._ZN9rocsparseL17kernel_correctionILi1024ELi4EdiiEEvT3_T2_PKS2_S4_PKS1_PKT1_21rocsparse_index_base_S4_S4_S6_PS7_SA_S4_S4_S6_SB_SA_SB_PNS_15floating_traitsIS7_E6data_tEPKSE_,"axG",@progbits,_ZN9rocsparseL17kernel_correctionILi1024ELi4EdiiEEvT3_T2_PKS2_S4_PKS1_PKT1_21rocsparse_index_base_S4_S4_S6_PS7_SA_S4_S4_S6_SB_SA_SB_PNS_15floating_traitsIS7_E6data_tEPKSE_,comdat
.Lfunc_end23:
	.size	_ZN9rocsparseL17kernel_correctionILi1024ELi4EdiiEEvT3_T2_PKS2_S4_PKS1_PKT1_21rocsparse_index_base_S4_S4_S6_PS7_SA_S4_S4_S6_SB_SA_SB_PNS_15floating_traitsIS7_E6data_tEPKSE_, .Lfunc_end23-_ZN9rocsparseL17kernel_correctionILi1024ELi4EdiiEEvT3_T2_PKS2_S4_PKS1_PKT1_21rocsparse_index_base_S4_S4_S6_PS7_SA_S4_S4_S6_SB_SA_SB_PNS_15floating_traitsIS7_E6data_tEPKSE_
                                        ; -- End function
	.set _ZN9rocsparseL17kernel_correctionILi1024ELi4EdiiEEvT3_T2_PKS2_S4_PKS1_PKT1_21rocsparse_index_base_S4_S4_S6_PS7_SA_S4_S4_S6_SB_SA_SB_PNS_15floating_traitsIS7_E6data_tEPKSE_.num_vgpr, 39
	.set _ZN9rocsparseL17kernel_correctionILi1024ELi4EdiiEEvT3_T2_PKS2_S4_PKS1_PKT1_21rocsparse_index_base_S4_S4_S6_PS7_SA_S4_S4_S6_SB_SA_SB_PNS_15floating_traitsIS7_E6data_tEPKSE_.num_agpr, 0
	.set _ZN9rocsparseL17kernel_correctionILi1024ELi4EdiiEEvT3_T2_PKS2_S4_PKS1_PKT1_21rocsparse_index_base_S4_S4_S6_PS7_SA_S4_S4_S6_SB_SA_SB_PNS_15floating_traitsIS7_E6data_tEPKSE_.numbered_sgpr, 51
	.set _ZN9rocsparseL17kernel_correctionILi1024ELi4EdiiEEvT3_T2_PKS2_S4_PKS1_PKT1_21rocsparse_index_base_S4_S4_S6_PS7_SA_S4_S4_S6_SB_SA_SB_PNS_15floating_traitsIS7_E6data_tEPKSE_.num_named_barrier, 0
	.set _ZN9rocsparseL17kernel_correctionILi1024ELi4EdiiEEvT3_T2_PKS2_S4_PKS1_PKT1_21rocsparse_index_base_S4_S4_S6_PS7_SA_S4_S4_S6_SB_SA_SB_PNS_15floating_traitsIS7_E6data_tEPKSE_.private_seg_size, 0
	.set _ZN9rocsparseL17kernel_correctionILi1024ELi4EdiiEEvT3_T2_PKS2_S4_PKS1_PKT1_21rocsparse_index_base_S4_S4_S6_PS7_SA_S4_S4_S6_SB_SA_SB_PNS_15floating_traitsIS7_E6data_tEPKSE_.uses_vcc, 1
	.set _ZN9rocsparseL17kernel_correctionILi1024ELi4EdiiEEvT3_T2_PKS2_S4_PKS1_PKT1_21rocsparse_index_base_S4_S4_S6_PS7_SA_S4_S4_S6_SB_SA_SB_PNS_15floating_traitsIS7_E6data_tEPKSE_.uses_flat_scratch, 0
	.set _ZN9rocsparseL17kernel_correctionILi1024ELi4EdiiEEvT3_T2_PKS2_S4_PKS1_PKT1_21rocsparse_index_base_S4_S4_S6_PS7_SA_S4_S4_S6_SB_SA_SB_PNS_15floating_traitsIS7_E6data_tEPKSE_.has_dyn_sized_stack, 0
	.set _ZN9rocsparseL17kernel_correctionILi1024ELi4EdiiEEvT3_T2_PKS2_S4_PKS1_PKT1_21rocsparse_index_base_S4_S4_S6_PS7_SA_S4_S4_S6_SB_SA_SB_PNS_15floating_traitsIS7_E6data_tEPKSE_.has_recursion, 0
	.set _ZN9rocsparseL17kernel_correctionILi1024ELi4EdiiEEvT3_T2_PKS2_S4_PKS1_PKT1_21rocsparse_index_base_S4_S4_S6_PS7_SA_S4_S4_S6_SB_SA_SB_PNS_15floating_traitsIS7_E6data_tEPKSE_.has_indirect_call, 0
	.section	.AMDGPU.csdata,"",@progbits
; Kernel info:
; codeLenInByte = 3440
; TotalNumSgprs: 53
; NumVgprs: 39
; ScratchSize: 0
; MemoryBound: 1
; FloatMode: 240
; IeeeMode: 1
; LDSByteSize: 2048 bytes/workgroup (compile time only)
; SGPRBlocks: 0
; VGPRBlocks: 4
; NumSGPRsForWavesPerEU: 53
; NumVGPRsForWavesPerEU: 39
; Occupancy: 16
; WaveLimiterHint : 1
; COMPUTE_PGM_RSRC2:SCRATCH_EN: 0
; COMPUTE_PGM_RSRC2:USER_SGPR: 6
; COMPUTE_PGM_RSRC2:TRAP_HANDLER: 0
; COMPUTE_PGM_RSRC2:TGID_X_EN: 1
; COMPUTE_PGM_RSRC2:TGID_Y_EN: 0
; COMPUTE_PGM_RSRC2:TGID_Z_EN: 0
; COMPUTE_PGM_RSRC2:TIDIG_COMP_CNT: 0
	.section	.text._ZN9rocsparseL17kernel_correctionILi1024ELi8EdiiEEvT3_T2_PKS2_S4_PKS1_PKT1_21rocsparse_index_base_S4_S4_S6_PS7_SA_S4_S4_S6_SB_SA_SB_PNS_15floating_traitsIS7_E6data_tEPKSE_,"axG",@progbits,_ZN9rocsparseL17kernel_correctionILi1024ELi8EdiiEEvT3_T2_PKS2_S4_PKS1_PKT1_21rocsparse_index_base_S4_S4_S6_PS7_SA_S4_S4_S6_SB_SA_SB_PNS_15floating_traitsIS7_E6data_tEPKSE_,comdat
	.globl	_ZN9rocsparseL17kernel_correctionILi1024ELi8EdiiEEvT3_T2_PKS2_S4_PKS1_PKT1_21rocsparse_index_base_S4_S4_S6_PS7_SA_S4_S4_S6_SB_SA_SB_PNS_15floating_traitsIS7_E6data_tEPKSE_ ; -- Begin function _ZN9rocsparseL17kernel_correctionILi1024ELi8EdiiEEvT3_T2_PKS2_S4_PKS1_PKT1_21rocsparse_index_base_S4_S4_S6_PS7_SA_S4_S4_S6_SB_SA_SB_PNS_15floating_traitsIS7_E6data_tEPKSE_
	.p2align	8
	.type	_ZN9rocsparseL17kernel_correctionILi1024ELi8EdiiEEvT3_T2_PKS2_S4_PKS1_PKT1_21rocsparse_index_base_S4_S4_S6_PS7_SA_S4_S4_S6_SB_SA_SB_PNS_15floating_traitsIS7_E6data_tEPKSE_,@function
_ZN9rocsparseL17kernel_correctionILi1024ELi8EdiiEEvT3_T2_PKS2_S4_PKS1_PKT1_21rocsparse_index_base_S4_S4_S6_PS7_SA_S4_S4_S6_SB_SA_SB_PNS_15floating_traitsIS7_E6data_tEPKSE_: ; @_ZN9rocsparseL17kernel_correctionILi1024ELi8EdiiEEvT3_T2_PKS2_S4_PKS1_PKT1_21rocsparse_index_base_S4_S4_S6_PS7_SA_S4_S4_S6_SB_SA_SB_PNS_15floating_traitsIS7_E6data_tEPKSE_
; %bb.0:
	s_load_dword s33, s[4:5], 0x0
	v_lshrrev_b32_e32 v22, 3, v0
	s_lshl_b32 s35, s6, 10
	v_mov_b32_e32 v3, 0
	v_and_b32_e32 v23, 7, v0
	v_mov_b32_e32 v4, 0
	v_or_b32_e32 v1, s35, v22
	s_mov_b32 s3, exec_lo
	s_waitcnt lgkmcnt(0)
	v_cmpx_gt_i32_e64 s33, v1
	s_cbranch_execz .LBB24_64
; %bb.1:
	v_mov_b32_e32 v3, 0
	v_mov_b32_e32 v4, 0
	s_addk_i32 s35, 0x400
	s_mov_b32 s34, exec_lo
	v_cmpx_gt_u32_e64 s35, v1
	s_cbranch_execz .LBB24_63
; %bb.2:
	s_clause 0x6
	s_load_dword s36, s[4:5], 0x28
	s_load_dwordx8 s[8:15], s[4:5], 0x58
	s_load_dwordx8 s[16:23], s[4:5], 0x30
	;; [unrolled: 1-line block ×3, first 2 shown]
	s_load_dword s37, s[4:5], 0x50
	s_load_dwordx2 s[6:7], s[4:5], 0x80
	s_load_dword s38, s[4:5], 0x78
	v_mov_b32_e32 v3, 0
	v_mov_b32_e32 v4, 0
	;; [unrolled: 1-line block ×3, first 2 shown]
	s_mov_b32 s39, 0
	s_waitcnt lgkmcnt(0)
	v_subrev_nc_u32_e32 v24, s36, v23
	s_branch .LBB24_6
.LBB24_3:                               ;   in Loop: Header=BB24_6 Depth=1
	s_or_b32 exec_lo, exec_lo, s42
.LBB24_4:                               ;   in Loop: Header=BB24_6 Depth=1
	s_or_b32 exec_lo, exec_lo, s41
.LBB24_5:                               ;   in Loop: Header=BB24_6 Depth=1
	s_or_b32 exec_lo, exec_lo, s40
	v_add_nc_u32_e32 v1, 0x80, v1
	v_cmp_le_u32_e32 vcc_lo, s35, v1
	s_or_b32 s39, vcc_lo, s39
	s_andn2_b32 exec_lo, exec_lo, s39
	s_cbranch_execz .LBB24_62
.LBB24_6:                               ; =>This Loop Header: Depth=1
                                        ;     Child Loop BB24_10 Depth 2
                                        ;       Child Loop BB24_14 Depth 3
                                        ;       Child Loop BB24_27 Depth 3
                                        ;       Child Loop BB24_35 Depth 3
                                        ;       Child Loop BB24_48 Depth 3
                                        ;       Child Loop BB24_58 Depth 3
	s_mov_b32 s40, exec_lo
	v_cmpx_gt_i32_e64 s33, v1
	s_cbranch_execz .LBB24_5
; %bb.7:                                ;   in Loop: Header=BB24_6 Depth=1
	v_ashrrev_i32_e32 v2, 31, v1
	s_mov_b32 s41, exec_lo
	v_lshlrev_b64 v[8:9], 2, v[1:2]
	v_add_co_u32 v10, vcc_lo, s24, v8
	v_add_co_ci_u32_e64 v11, null, s25, v9, vcc_lo
	v_add_co_u32 v12, vcc_lo, s26, v8
	v_add_co_ci_u32_e64 v13, null, s27, v9, vcc_lo
	global_load_dword v2, v[10:11], off
	global_load_dword v5, v[12:13], off
	s_waitcnt vmcnt(1)
	v_add_nc_u32_e32 v7, v24, v2
	s_waitcnt vmcnt(0)
	v_subrev_nc_u32_e32 v2, s36, v5
	v_cmpx_lt_i32_e64 v7, v2
	s_cbranch_execz .LBB24_4
; %bb.8:                                ;   in Loop: Header=BB24_6 Depth=1
	v_add_co_u32 v10, vcc_lo, s16, v8
	v_add_co_ci_u32_e64 v11, null, s17, v9, vcc_lo
	v_add_co_u32 v8, vcc_lo, s18, v8
	v_add_co_ci_u32_e64 v9, null, s19, v9, vcc_lo
	global_load_dword v5, v[10:11], off
	s_mov_b32 s42, 0
	global_load_dword v8, v[8:9], off
	s_waitcnt vmcnt(1)
	v_subrev_nc_u32_e32 v9, s37, v5
	s_waitcnt vmcnt(0)
	v_sub_nc_u32_e32 v25, v8, v5
	v_ashrrev_i32_e32 v10, 31, v9
	v_cmp_lt_i32_e64 s0, 0, v25
	v_lshlrev_b64 v[11:12], 2, v[9:10]
	v_lshlrev_b64 v[13:14], 3, v[9:10]
	v_add_co_u32 v26, vcc_lo, s20, v11
	v_add_co_ci_u32_e64 v27, null, s21, v12, vcc_lo
	v_add_co_u32 v28, vcc_lo, s22, v13
	v_add_co_ci_u32_e64 v29, null, s23, v14, vcc_lo
	s_branch .LBB24_10
.LBB24_9:                               ;   in Loop: Header=BB24_10 Depth=2
	s_or_b32 exec_lo, exec_lo, s2
	v_add_f64 v[10:11], v[16:17], -v[10:11]
	v_add_nc_u32_e32 v7, 8, v7
	v_cmp_ge_i32_e32 vcc_lo, v7, v2
	v_cmp_nlg_f64_e64 s1, 0x7ff00000, |v[10:11]|
	v_cmp_gt_f64_e64 s2, v[3:4], |v[10:11]|
	v_and_b32_e32 v5, 0x7fffffff, v11
	s_or_b32 s1, s1, s2
	s_or_b32 s42, vcc_lo, s42
	v_cndmask_b32_e64 v4, v5, v4, s1
	v_cndmask_b32_e64 v3, v10, v3, s1
	s_andn2_b32 exec_lo, exec_lo, s42
	s_cbranch_execz .LBB24_3
.LBB24_10:                              ;   Parent Loop BB24_6 Depth=1
                                        ; =>  This Loop Header: Depth=2
                                        ;       Child Loop BB24_14 Depth 3
                                        ;       Child Loop BB24_27 Depth 3
	;; [unrolled: 1-line block ×5, first 2 shown]
	v_ashrrev_i32_e32 v8, 31, v7
	v_lshlrev_b64 v[10:11], 2, v[7:8]
	v_add_co_u32 v10, vcc_lo, s28, v10
	v_add_co_ci_u32_e64 v11, null, s29, v11, vcc_lo
	global_load_dword v5, v[10:11], off
	s_waitcnt vmcnt(0)
	v_subrev_nc_u32_e32 v12, s36, v5
	v_ashrrev_i32_e32 v13, 31, v12
	v_lshlrev_b64 v[10:11], 2, v[12:13]
	v_add_co_u32 v14, vcc_lo, s8, v10
	v_add_co_ci_u32_e64 v15, null, s9, v11, vcc_lo
	v_add_co_u32 v10, vcc_lo, s10, v10
	v_add_co_ci_u32_e64 v11, null, s11, v11, vcc_lo
	global_load_dword v5, v[14:15], off
	global_load_dword v16, v[10:11], off
	v_mov_b32_e32 v15, 0
	v_mov_b32_e32 v10, 0
	;; [unrolled: 1-line block ×3, first 2 shown]
	s_waitcnt vmcnt(1)
	v_subrev_nc_u32_e32 v14, s38, v5
	s_waitcnt vmcnt(0)
	v_sub_nc_u32_e32 v30, v16, v5
	v_mov_b32_e32 v5, v15
	s_and_saveexec_b32 s2, s0
	s_cbranch_execz .LBB24_18
; %bb.11:                               ;   in Loop: Header=BB24_10 Depth=2
	v_ashrrev_i32_e32 v15, 31, v14
	v_mov_b32_e32 v10, 0
	v_mov_b32_e32 v11, 0
	;; [unrolled: 1-line block ×3, first 2 shown]
	s_mov_b32 s43, 0
	v_lshlrev_b64 v[17:18], 2, v[14:15]
	v_lshlrev_b64 v[15:16], 3, v[14:15]
                                        ; implicit-def: $sgpr44
	v_add_co_u32 v17, vcc_lo, s12, v17
	v_add_co_ci_u32_e64 v18, null, s13, v18, vcc_lo
	v_add_co_u32 v19, vcc_lo, s14, v15
	v_add_co_ci_u32_e64 v20, null, s15, v16, vcc_lo
	v_mov_b32_e32 v15, 0
	s_branch .LBB24_14
.LBB24_12:                              ;   in Loop: Header=BB24_14 Depth=3
	s_or_b32 exec_lo, exec_lo, s1
	v_cmp_le_i32_e32 vcc_lo, v21, v31
	v_cmp_ge_i32_e64 s1, v21, v31
	v_add_co_ci_u32_e64 v5, null, 0, v5, vcc_lo
	v_add_co_ci_u32_e64 v15, null, 0, v15, s1
	s_andn2_b32 s1, s44, exec_lo
	v_cmp_ge_i32_e32 vcc_lo, v5, v25
	s_and_b32 s44, vcc_lo, exec_lo
	s_or_b32 s44, s1, s44
.LBB24_13:                              ;   in Loop: Header=BB24_14 Depth=3
	s_or_b32 exec_lo, exec_lo, s45
	s_and_b32 s1, exec_lo, s44
	s_or_b32 s43, s1, s43
	s_andn2_b32 exec_lo, exec_lo, s43
	s_cbranch_execz .LBB24_17
.LBB24_14:                              ;   Parent Loop BB24_6 Depth=1
                                        ;     Parent Loop BB24_10 Depth=2
                                        ; =>    This Inner Loop Header: Depth=3
	s_or_b32 s44, s44, exec_lo
	s_mov_b32 s45, exec_lo
	v_cmpx_lt_i32_e64 v15, v30
	s_cbranch_execz .LBB24_13
; %bb.15:                               ;   in Loop: Header=BB24_14 Depth=3
	v_mov_b32_e32 v16, v6
	v_lshlrev_b64 v[31:32], 2, v[5:6]
	s_mov_b32 s1, exec_lo
	v_lshlrev_b64 v[33:34], 2, v[15:16]
	v_add_co_u32 v31, vcc_lo, v26, v31
	v_add_co_ci_u32_e64 v32, null, v27, v32, vcc_lo
	v_add_co_u32 v33, vcc_lo, v17, v33
	v_add_co_ci_u32_e64 v34, null, v18, v34, vcc_lo
	global_load_dword v21, v[31:32], off
	global_load_dword v31, v[33:34], off
	s_waitcnt vmcnt(1)
	v_subrev_nc_u32_e32 v21, s37, v21
	s_waitcnt vmcnt(0)
	v_subrev_nc_u32_e32 v31, s38, v31
	v_cmpx_eq_u32_e64 v21, v31
	s_cbranch_execz .LBB24_12
; %bb.16:                               ;   in Loop: Header=BB24_14 Depth=3
	v_lshlrev_b64 v[32:33], 3, v[5:6]
	v_lshlrev_b64 v[34:35], 3, v[15:16]
	v_add_co_u32 v32, vcc_lo, v28, v32
	v_add_co_ci_u32_e64 v33, null, v29, v33, vcc_lo
	v_add_co_u32 v34, vcc_lo, v19, v34
	v_add_co_ci_u32_e64 v35, null, v20, v35, vcc_lo
	global_load_dwordx2 v[32:33], v[32:33], off
	global_load_dwordx2 v[34:35], v[34:35], off
	s_waitcnt vmcnt(0)
	v_fma_f64 v[10:11], v[32:33], v[34:35], v[10:11]
	s_branch .LBB24_12
.LBB24_17:                              ;   in Loop: Header=BB24_10 Depth=2
	s_or_b32 exec_lo, exec_lo, s43
.LBB24_18:                              ;   in Loop: Header=BB24_10 Depth=2
	s_or_b32 exec_lo, exec_lo, s2
	v_lshlrev_b64 v[16:17], 3, v[7:8]
	v_cmp_le_i32_e64 s1, v1, v12
	s_mov_b32 s2, exec_lo
	v_add_co_u32 v16, vcc_lo, s30, v16
	v_add_co_ci_u32_e64 v17, null, s31, v17, vcc_lo
	global_load_dwordx2 v[16:17], v[16:17], off
	s_waitcnt vmcnt(0)
	v_add_f64 v[18:19], v[16:17], -v[10:11]
	v_cmpx_gt_i32_e64 v1, v12
	s_cbranch_execz .LBB24_20
; %bb.19:                               ;   in Loop: Header=BB24_10 Depth=2
	v_lshlrev_b64 v[20:21], 3, v[12:13]
	v_add_co_u32 v20, vcc_lo, s6, v20
	v_add_co_ci_u32_e64 v21, null, s7, v21, vcc_lo
	global_load_dwordx2 v[20:21], v[20:21], off
	s_waitcnt vmcnt(0)
	v_div_scale_f64 v[31:32], null, v[20:21], v[20:21], v[18:19]
	v_rcp_f64_e32 v[33:34], v[31:32]
	v_fma_f64 v[35:36], -v[31:32], v[33:34], 1.0
	v_fma_f64 v[33:34], v[33:34], v[35:36], v[33:34]
	v_fma_f64 v[35:36], -v[31:32], v[33:34], 1.0
	v_fma_f64 v[33:34], v[33:34], v[35:36], v[33:34]
	v_div_scale_f64 v[35:36], vcc_lo, v[18:19], v[20:21], v[18:19]
	v_mul_f64 v[37:38], v[35:36], v[33:34]
	v_fma_f64 v[31:32], -v[31:32], v[37:38], v[35:36]
	v_div_fmas_f64 v[31:32], v[31:32], v[33:34], v[37:38]
	v_div_fixup_f64 v[18:19], v[31:32], v[20:21], v[18:19]
.LBB24_20:                              ;   in Loop: Header=BB24_10 Depth=2
	s_or_b32 exec_lo, exec_lo, s2
	s_mov_b32 s43, exec_lo
	v_cmp_lt_i32_e32 vcc_lo, v15, v30
	v_cmpx_ge_i32_e64 v15, v30
	s_xor_b32 s43, exec_lo, s43
	s_cbranch_execnz .LBB24_24
; %bb.21:                               ;   in Loop: Header=BB24_10 Depth=2
	s_andn2_saveexec_b32 s43, s43
	s_cbranch_execnz .LBB24_33
.LBB24_22:                              ;   in Loop: Header=BB24_10 Depth=2
	s_or_b32 exec_lo, exec_lo, s43
	s_mov_b32 s43, exec_lo
	v_cmpx_eq_u32_e64 v1, v12
	s_cbranch_execnz .LBB24_40
.LBB24_23:                              ;   in Loop: Header=BB24_10 Depth=2
	s_or_b32 exec_lo, exec_lo, s43
	v_cmp_class_f64_e64 s43, v[18:19], 0x1f8
	s_and_saveexec_b32 s2, s43
	s_cbranch_execz .LBB24_9
	s_branch .LBB24_41
.LBB24_24:                              ;   in Loop: Header=BB24_10 Depth=2
	s_mov_b32 s44, exec_lo
	v_cmpx_lt_i32_e64 v5, v25
	s_cbranch_execz .LBB24_32
; %bb.25:                               ;   in Loop: Header=BB24_10 Depth=2
	v_mov_b32_e32 v8, v5
	s_mov_b32 s45, 0
                                        ; implicit-def: $sgpr46
                                        ; implicit-def: $sgpr48
                                        ; implicit-def: $sgpr47
	s_inst_prefetch 0x1
	s_branch .LBB24_27
	.p2align	6
.LBB24_26:                              ;   in Loop: Header=BB24_27 Depth=3
	s_or_b32 exec_lo, exec_lo, s49
	s_and_b32 s2, exec_lo, s48
	s_or_b32 s45, s2, s45
	s_andn2_b32 s2, s46, exec_lo
	s_and_b32 s46, s47, exec_lo
	s_or_b32 s46, s2, s46
	s_andn2_b32 exec_lo, exec_lo, s45
	s_cbranch_execz .LBB24_29
.LBB24_27:                              ;   Parent Loop BB24_6 Depth=1
                                        ;     Parent Loop BB24_10 Depth=2
                                        ; =>    This Inner Loop Header: Depth=3
	v_add_nc_u32_e32 v20, v9, v8
	s_or_b32 s47, s47, exec_lo
	s_or_b32 s48, s48, exec_lo
	s_mov_b32 s49, exec_lo
	v_ashrrev_i32_e32 v21, 31, v20
	v_lshlrev_b64 v[31:32], 2, v[20:21]
	v_add_co_u32 v31, s2, s20, v31
	v_add_co_ci_u32_e64 v32, null, s21, v32, s2
	global_load_dword v31, v[31:32], off
	s_waitcnt vmcnt(0)
	v_subrev_nc_u32_e32 v31, s37, v31
	v_cmpx_ne_u32_e64 v31, v12
	s_cbranch_execz .LBB24_26
; %bb.28:                               ;   in Loop: Header=BB24_27 Depth=3
	v_add_nc_u32_e32 v8, 1, v8
	s_andn2_b32 s48, s48, exec_lo
	s_andn2_b32 s47, s47, exec_lo
	v_cmp_ge_i32_e64 s2, v8, v25
	s_and_b32 s2, s2, exec_lo
	s_or_b32 s48, s48, s2
	s_branch .LBB24_26
.LBB24_29:                              ;   in Loop: Header=BB24_10 Depth=2
	s_inst_prefetch 0x2
	s_or_b32 exec_lo, exec_lo, s45
	s_and_saveexec_b32 s2, s46
	s_xor_b32 s45, exec_lo, s2
	s_cbranch_execz .LBB24_31
; %bb.30:                               ;   in Loop: Header=BB24_10 Depth=2
	v_lshlrev_b64 v[20:21], 3, v[20:21]
	v_lshlrev_b64 v[31:32], 3, v[12:13]
	v_add_co_u32 v20, s2, s22, v20
	v_add_co_ci_u32_e64 v21, null, s23, v21, s2
	v_add_co_u32 v31, s2, s6, v31
	v_add_co_ci_u32_e64 v32, null, s7, v32, s2
	global_load_dwordx2 v[20:21], v[20:21], off
	global_load_dwordx2 v[31:32], v[31:32], off
	s_waitcnt vmcnt(0)
	v_fma_f64 v[10:11], v[20:21], v[31:32], v[10:11]
.LBB24_31:                              ;   in Loop: Header=BB24_10 Depth=2
	s_or_b32 exec_lo, exec_lo, s45
.LBB24_32:                              ;   in Loop: Header=BB24_10 Depth=2
	s_or_b32 exec_lo, exec_lo, s44
	s_andn2_saveexec_b32 s43, s43
	s_cbranch_execz .LBB24_22
.LBB24_33:                              ;   in Loop: Header=BB24_10 Depth=2
	v_mov_b32_e32 v8, v15
	s_mov_b32 s44, 0
                                        ; implicit-def: $sgpr45
                                        ; implicit-def: $sgpr47
                                        ; implicit-def: $sgpr46
	s_inst_prefetch 0x1
	s_branch .LBB24_35
	.p2align	6
.LBB24_34:                              ;   in Loop: Header=BB24_35 Depth=3
	s_or_b32 exec_lo, exec_lo, s48
	s_and_b32 s2, exec_lo, s47
	s_or_b32 s44, s2, s44
	s_andn2_b32 s2, s45, exec_lo
	s_and_b32 s45, s46, exec_lo
	s_or_b32 s45, s2, s45
	s_andn2_b32 exec_lo, exec_lo, s44
	s_cbranch_execz .LBB24_37
.LBB24_35:                              ;   Parent Loop BB24_6 Depth=1
                                        ;     Parent Loop BB24_10 Depth=2
                                        ; =>    This Inner Loop Header: Depth=3
	v_add_nc_u32_e32 v20, v14, v8
	s_or_b32 s46, s46, exec_lo
	s_or_b32 s47, s47, exec_lo
	s_mov_b32 s48, exec_lo
	v_ashrrev_i32_e32 v21, 31, v20
	v_lshlrev_b64 v[31:32], 2, v[20:21]
	v_add_co_u32 v31, s2, s12, v31
	v_add_co_ci_u32_e64 v32, null, s13, v32, s2
	global_load_dword v31, v[31:32], off
	s_waitcnt vmcnt(0)
	v_subrev_nc_u32_e32 v31, s38, v31
	v_cmpx_ne_u32_e64 v31, v1
	s_cbranch_execz .LBB24_34
; %bb.36:                               ;   in Loop: Header=BB24_35 Depth=3
	v_add_nc_u32_e32 v8, 1, v8
	s_andn2_b32 s47, s47, exec_lo
	s_andn2_b32 s46, s46, exec_lo
	v_cmp_ge_i32_e64 s2, v8, v30
	s_and_b32 s2, s2, exec_lo
	s_or_b32 s47, s47, s2
	s_branch .LBB24_34
.LBB24_37:                              ;   in Loop: Header=BB24_10 Depth=2
	s_inst_prefetch 0x2
	s_or_b32 exec_lo, exec_lo, s44
	s_and_saveexec_b32 s2, s45
	s_xor_b32 s44, exec_lo, s2
	s_cbranch_execz .LBB24_39
; %bb.38:                               ;   in Loop: Header=BB24_10 Depth=2
	v_lshlrev_b64 v[20:21], 3, v[20:21]
	v_add_co_u32 v20, s2, s14, v20
	v_add_co_ci_u32_e64 v21, null, s15, v21, s2
	global_load_dwordx2 v[20:21], v[20:21], off
	s_waitcnt vmcnt(0)
	v_add_f64 v[10:11], v[10:11], v[20:21]
.LBB24_39:                              ;   in Loop: Header=BB24_10 Depth=2
	s_or_b32 exec_lo, exec_lo, s44
	s_or_b32 exec_lo, exec_lo, s43
	s_mov_b32 s43, exec_lo
	v_cmpx_eq_u32_e64 v1, v12
	s_cbranch_execz .LBB24_23
.LBB24_40:                              ;   in Loop: Header=BB24_10 Depth=2
	v_lshlrev_b64 v[20:21], 3, v[12:13]
	v_add_co_u32 v20, s2, s6, v20
	v_add_co_ci_u32_e64 v21, null, s7, v21, s2
	global_load_dwordx2 v[20:21], v[20:21], off
	s_waitcnt vmcnt(0)
	v_add_f64 v[10:11], v[10:11], v[20:21]
	s_or_b32 exec_lo, exec_lo, s43
	v_cmp_class_f64_e64 s43, v[18:19], 0x1f8
	s_and_saveexec_b32 s2, s43
	s_cbranch_execz .LBB24_9
.LBB24_41:                              ;   in Loop: Header=BB24_10 Depth=2
	s_and_saveexec_b32 s43, s1
	s_xor_b32 s43, exec_lo, s43
	s_cbranch_execz .LBB24_54
; %bb.42:                               ;   in Loop: Header=BB24_10 Depth=2
	s_mov_b32 s44, exec_lo
	v_cmpx_ge_i32_e64 v1, v12
	s_xor_b32 s44, exec_lo, s44
	s_cbranch_execz .LBB24_44
; %bb.43:                               ;   in Loop: Header=BB24_10 Depth=2
	v_lshlrev_b64 v[12:13], 3, v[12:13]
                                        ; implicit-def: $vgpr15
                                        ; implicit-def: $vgpr14
                                        ; implicit-def: $vgpr30
	v_add_co_u32 v12, s1, s6, v12
	v_add_co_ci_u32_e64 v13, null, s7, v13, s1
	global_store_dwordx2 v[12:13], v[18:19], off
                                        ; implicit-def: $vgpr18_vgpr19
.LBB24_44:                              ;   in Loop: Header=BB24_10 Depth=2
	s_andn2_saveexec_b32 s1, s44
	s_cbranch_execz .LBB24_53
; %bb.45:                               ;   in Loop: Header=BB24_10 Depth=2
	s_and_saveexec_b32 s44, vcc_lo
	s_cbranch_execz .LBB24_52
; %bb.46:                               ;   in Loop: Header=BB24_10 Depth=2
	s_mov_b32 s45, 0
                                        ; implicit-def: $sgpr46
                                        ; implicit-def: $sgpr48
                                        ; implicit-def: $sgpr47
	s_inst_prefetch 0x1
	s_branch .LBB24_48
	.p2align	6
.LBB24_47:                              ;   in Loop: Header=BB24_48 Depth=3
	s_or_b32 exec_lo, exec_lo, s49
	s_and_b32 s49, exec_lo, s48
	s_or_b32 s45, s49, s45
	s_andn2_b32 s46, s46, exec_lo
	s_and_b32 s49, s47, exec_lo
	s_or_b32 s46, s46, s49
	s_andn2_b32 exec_lo, exec_lo, s45
	s_cbranch_execz .LBB24_50
.LBB24_48:                              ;   Parent Loop BB24_6 Depth=1
                                        ;     Parent Loop BB24_10 Depth=2
                                        ; =>    This Inner Loop Header: Depth=3
	v_add_nc_u32_e32 v12, v14, v15
	s_or_b32 s47, s47, exec_lo
	s_or_b32 s48, s48, exec_lo
	s_mov_b32 s49, exec_lo
	v_ashrrev_i32_e32 v13, 31, v12
	v_lshlrev_b64 v[20:21], 2, v[12:13]
	v_add_co_u32 v20, vcc_lo, s12, v20
	v_add_co_ci_u32_e64 v21, null, s13, v21, vcc_lo
	global_load_dword v5, v[20:21], off
	s_waitcnt vmcnt(0)
	v_subrev_nc_u32_e32 v5, s38, v5
	v_cmpx_ne_u32_e64 v5, v1
	s_cbranch_execz .LBB24_47
; %bb.49:                               ;   in Loop: Header=BB24_48 Depth=3
	v_add_nc_u32_e32 v15, 1, v15
	s_andn2_b32 s48, s48, exec_lo
	s_andn2_b32 s47, s47, exec_lo
	v_cmp_ge_i32_e32 vcc_lo, v15, v30
	s_and_b32 s50, vcc_lo, exec_lo
	s_or_b32 s48, s48, s50
	s_branch .LBB24_47
.LBB24_50:                              ;   in Loop: Header=BB24_10 Depth=2
	s_inst_prefetch 0x2
	s_or_b32 exec_lo, exec_lo, s45
	s_and_saveexec_b32 s45, s46
	s_xor_b32 s45, exec_lo, s45
	s_cbranch_execz .LBB24_52
; %bb.51:                               ;   in Loop: Header=BB24_10 Depth=2
	v_lshlrev_b64 v[12:13], 3, v[12:13]
	v_add_co_u32 v12, vcc_lo, s14, v12
	v_add_co_ci_u32_e64 v13, null, s15, v13, vcc_lo
	global_store_dwordx2 v[12:13], v[18:19], off
.LBB24_52:                              ;   in Loop: Header=BB24_10 Depth=2
	s_or_b32 exec_lo, exec_lo, s44
.LBB24_53:                              ;   in Loop: Header=BB24_10 Depth=2
	s_or_b32 exec_lo, exec_lo, s1
                                        ; implicit-def: $vgpr18_vgpr19
                                        ; implicit-def: $vgpr12_vgpr13
.LBB24_54:                              ;   in Loop: Header=BB24_10 Depth=2
	s_andn2_saveexec_b32 s1, s43
	s_cbranch_execz .LBB24_9
; %bb.55:                               ;   in Loop: Header=BB24_10 Depth=2
	v_cmp_lt_i32_e32 vcc_lo, v5, v25
	s_and_b32 exec_lo, exec_lo, vcc_lo
	s_cbranch_execz .LBB24_9
; %bb.56:                               ;   in Loop: Header=BB24_10 Depth=2
	s_mov_b32 s1, 0
                                        ; implicit-def: $sgpr43
                                        ; implicit-def: $sgpr45
                                        ; implicit-def: $sgpr44
	s_inst_prefetch 0x1
	s_branch .LBB24_58
	.p2align	6
.LBB24_57:                              ;   in Loop: Header=BB24_58 Depth=3
	s_or_b32 exec_lo, exec_lo, s46
	s_and_b32 s46, exec_lo, s45
	s_or_b32 s1, s46, s1
	s_andn2_b32 s43, s43, exec_lo
	s_and_b32 s46, s44, exec_lo
	s_or_b32 s43, s43, s46
	s_andn2_b32 exec_lo, exec_lo, s1
	s_cbranch_execz .LBB24_60
.LBB24_58:                              ;   Parent Loop BB24_6 Depth=1
                                        ;     Parent Loop BB24_10 Depth=2
                                        ; =>    This Inner Loop Header: Depth=3
	v_add_nc_u32_e32 v13, v9, v5
	s_or_b32 s44, s44, exec_lo
	s_or_b32 s45, s45, exec_lo
	s_mov_b32 s46, exec_lo
	v_ashrrev_i32_e32 v14, 31, v13
	v_lshlrev_b64 v[20:21], 2, v[13:14]
	v_add_co_u32 v20, vcc_lo, s20, v20
	v_add_co_ci_u32_e64 v21, null, s21, v21, vcc_lo
	global_load_dword v8, v[20:21], off
	s_waitcnt vmcnt(0)
	v_subrev_nc_u32_e32 v8, s37, v8
	v_cmpx_ne_u32_e64 v8, v12
	s_cbranch_execz .LBB24_57
; %bb.59:                               ;   in Loop: Header=BB24_58 Depth=3
	v_add_nc_u32_e32 v5, 1, v5
	s_andn2_b32 s45, s45, exec_lo
	s_andn2_b32 s44, s44, exec_lo
	v_cmp_ge_i32_e32 vcc_lo, v5, v25
	s_and_b32 s47, vcc_lo, exec_lo
	s_or_b32 s45, s45, s47
	s_branch .LBB24_57
.LBB24_60:                              ;   in Loop: Header=BB24_10 Depth=2
	s_inst_prefetch 0x2
	s_or_b32 exec_lo, exec_lo, s1
	s_and_saveexec_b32 s1, s43
	s_xor_b32 s1, exec_lo, s1
	s_cbranch_execz .LBB24_9
; %bb.61:                               ;   in Loop: Header=BB24_10 Depth=2
	v_lshlrev_b64 v[12:13], 3, v[13:14]
	v_add_co_u32 v12, vcc_lo, s22, v12
	v_add_co_ci_u32_e64 v13, null, s23, v13, vcc_lo
	global_store_dwordx2 v[12:13], v[18:19], off
	s_branch .LBB24_9
.LBB24_62:
	s_or_b32 exec_lo, exec_lo, s39
.LBB24_63:
	s_or_b32 exec_lo, exec_lo, s34
.LBB24_64:
	s_or_b32 exec_lo, exec_lo, s3
	v_mbcnt_lo_u32_b32 v5, -1, 0
	v_xor_b32_e32 v1, 4, v5
	v_xor_b32_e32 v6, 2, v5
	v_cmp_gt_i32_e32 vcc_lo, 32, v1
	v_cmp_gt_i32_e64 s0, 32, v6
	v_cndmask_b32_e32 v1, v5, v1, vcc_lo
	v_cndmask_b32_e64 v6, v5, v6, s0
	v_lshlrev_b32_e32 v2, 2, v1
	v_lshlrev_b32_e32 v6, 2, v6
	ds_bpermute_b32 v1, v2, v3
	ds_bpermute_b32 v2, v2, v4
	s_waitcnt lgkmcnt(0)
	v_cmp_lt_f64_e32 vcc_lo, v[3:4], v[1:2]
	v_cndmask_b32_e32 v2, v4, v2, vcc_lo
	v_cndmask_b32_e32 v1, v3, v1, vcc_lo
	ds_bpermute_b32 v4, v6, v2
	ds_bpermute_b32 v3, v6, v1
	v_xor_b32_e32 v6, 1, v5
	v_cmp_gt_i32_e64 s0, 32, v6
	v_cndmask_b32_e64 v5, v5, v6, s0
	s_mov_b32 s0, exec_lo
	v_lshlrev_b32_e32 v5, 2, v5
	s_waitcnt lgkmcnt(0)
	v_cmp_lt_f64_e32 vcc_lo, v[1:2], v[3:4]
	v_cndmask_b32_e32 v2, v2, v4, vcc_lo
	v_cndmask_b32_e32 v1, v1, v3, vcc_lo
	ds_bpermute_b32 v3, v5, v1
	ds_bpermute_b32 v5, v5, v2
	v_cmpx_eq_u32_e32 7, v23
	s_cbranch_execz .LBB24_66
; %bb.65:
	s_waitcnt lgkmcnt(0)
	v_mov_b32_e32 v4, v5
	v_cmp_lt_f64_e32 vcc_lo, v[1:2], v[3:4]
	v_lshlrev_b32_e32 v4, 3, v22
	v_cndmask_b32_e32 v2, v2, v5, vcc_lo
	v_cndmask_b32_e32 v1, v1, v3, vcc_lo
	ds_write_b64 v4, v[1:2]
.LBB24_66:
	s_or_b32 exec_lo, exec_lo, s0
	v_lshlrev_b32_e32 v1, 3, v0
	s_mov_b32 s0, exec_lo
	s_waitcnt lgkmcnt(0)
	s_waitcnt_vscnt null, 0x0
	s_barrier
	buffer_gl0_inv
	v_cmpx_gt_u32_e32 64, v0
	s_cbranch_execz .LBB24_68
; %bb.67:
	ds_read2st64_b64 v[2:5], v1 offset1:1
	s_waitcnt lgkmcnt(0)
	v_cmp_lt_f64_e32 vcc_lo, v[2:3], v[4:5]
	v_cndmask_b32_e32 v3, v3, v5, vcc_lo
	v_cndmask_b32_e32 v2, v2, v4, vcc_lo
	ds_write_b64 v1, v[2:3]
.LBB24_68:
	s_or_b32 exec_lo, exec_lo, s0
	s_mov_b32 s0, exec_lo
	s_waitcnt lgkmcnt(0)
	s_barrier
	buffer_gl0_inv
	v_cmpx_gt_u32_e32 32, v0
	s_cbranch_execz .LBB24_70
; %bb.69:
	ds_read2_b64 v[2:5], v1 offset1:32
	s_waitcnt lgkmcnt(0)
	v_cmp_lt_f64_e32 vcc_lo, v[2:3], v[4:5]
	v_cndmask_b32_e32 v3, v3, v5, vcc_lo
	v_cndmask_b32_e32 v2, v2, v4, vcc_lo
	ds_write_b64 v1, v[2:3]
.LBB24_70:
	s_or_b32 exec_lo, exec_lo, s0
	s_mov_b32 s0, exec_lo
	s_waitcnt lgkmcnt(0)
	s_barrier
	buffer_gl0_inv
	v_cmpx_gt_u32_e32 16, v0
	s_cbranch_execz .LBB24_72
; %bb.71:
	ds_read2_b64 v[2:5], v1 offset1:16
	s_waitcnt lgkmcnt(0)
	v_cmp_lt_f64_e32 vcc_lo, v[2:3], v[4:5]
	v_cndmask_b32_e32 v3, v3, v5, vcc_lo
	v_cndmask_b32_e32 v2, v2, v4, vcc_lo
	ds_write_b64 v1, v[2:3]
.LBB24_72:
	;; [unrolled: 15-line block ×5, first 2 shown]
	s_or_b32 exec_lo, exec_lo, s0
	v_cmp_eq_u32_e32 vcc_lo, 0, v0
	s_waitcnt lgkmcnt(0)
	s_barrier
	buffer_gl0_inv
	s_and_saveexec_b32 s1, vcc_lo
	s_cbranch_execz .LBB24_80
; %bb.79:
	v_mov_b32_e32 v4, 0
	ds_read_b128 v[0:3], v4
	s_waitcnt lgkmcnt(0)
	v_cmp_lt_f64_e64 s0, v[0:1], v[2:3]
	v_cndmask_b32_e64 v1, v1, v3, s0
	v_cndmask_b32_e64 v0, v0, v2, s0
	ds_write_b64 v4, v[0:1]
.LBB24_80:
	s_or_b32 exec_lo, exec_lo, s1
	s_waitcnt lgkmcnt(0)
	s_barrier
	buffer_gl0_inv
	s_and_saveexec_b32 s0, vcc_lo
	s_cbranch_execz .LBB24_84
; %bb.81:
	v_mbcnt_lo_u32_b32 v0, exec_lo, 0
	s_mov_b32 s6, 0
	v_cmp_eq_u32_e32 vcc_lo, 0, v0
	s_and_b32 exec_lo, exec_lo, vcc_lo
	s_cbranch_execz .LBB24_84
; %bb.82:
	s_load_dwordx4 s[0:3], s[4:5], 0x88
	v_mov_b32_e32 v6, 0
	ds_read_b64 v[0:1], v6
	s_waitcnt lgkmcnt(0)
	s_load_dwordx2 s[2:3], s[2:3], 0x0
	s_waitcnt lgkmcnt(0)
	v_div_scale_f64 v[2:3], null, s[2:3], s[2:3], v[0:1]
	v_rcp_f64_e32 v[4:5], v[2:3]
	v_fma_f64 v[7:8], -v[2:3], v[4:5], 1.0
	v_fma_f64 v[4:5], v[4:5], v[7:8], v[4:5]
	v_fma_f64 v[7:8], -v[2:3], v[4:5], 1.0
	v_fma_f64 v[4:5], v[4:5], v[7:8], v[4:5]
	v_div_scale_f64 v[7:8], vcc_lo, v[0:1], s[2:3], v[0:1]
	v_mul_f64 v[9:10], v[7:8], v[4:5]
	v_fma_f64 v[2:3], -v[2:3], v[9:10], v[7:8]
	v_div_fmas_f64 v[2:3], v[2:3], v[4:5], v[9:10]
	v_div_fixup_f64 v[0:1], v[2:3], s[2:3], v[0:1]
	s_load_dwordx2 s[2:3], s[0:1], 0x0
	s_waitcnt lgkmcnt(0)
	v_mov_b32_e32 v2, s2
	v_max_f64 v[4:5], v[0:1], v[0:1]
	v_mov_b32_e32 v3, s3
.LBB24_83:                              ; =>This Inner Loop Header: Depth=1
	v_max_f64 v[0:1], v[2:3], v[2:3]
	v_max_f64 v[0:1], v[0:1], v[4:5]
	global_atomic_cmpswap_x2 v[0:1], v6, v[0:3], s[0:1] glc
	s_waitcnt vmcnt(0)
	v_cmp_eq_u64_e32 vcc_lo, v[0:1], v[2:3]
	v_mov_b32_e32 v3, v1
	v_mov_b32_e32 v2, v0
	s_or_b32 s6, vcc_lo, s6
	s_andn2_b32 exec_lo, exec_lo, s6
	s_cbranch_execnz .LBB24_83
.LBB24_84:
	s_endpgm
	.section	.rodata,"a",@progbits
	.p2align	6, 0x0
	.amdhsa_kernel _ZN9rocsparseL17kernel_correctionILi1024ELi8EdiiEEvT3_T2_PKS2_S4_PKS1_PKT1_21rocsparse_index_base_S4_S4_S6_PS7_SA_S4_S4_S6_SB_SA_SB_PNS_15floating_traitsIS7_E6data_tEPKSE_
		.amdhsa_group_segment_fixed_size 1024
		.amdhsa_private_segment_fixed_size 0
		.amdhsa_kernarg_size 152
		.amdhsa_user_sgpr_count 6
		.amdhsa_user_sgpr_private_segment_buffer 1
		.amdhsa_user_sgpr_dispatch_ptr 0
		.amdhsa_user_sgpr_queue_ptr 0
		.amdhsa_user_sgpr_kernarg_segment_ptr 1
		.amdhsa_user_sgpr_dispatch_id 0
		.amdhsa_user_sgpr_flat_scratch_init 0
		.amdhsa_user_sgpr_private_segment_size 0
		.amdhsa_wavefront_size32 1
		.amdhsa_uses_dynamic_stack 0
		.amdhsa_system_sgpr_private_segment_wavefront_offset 0
		.amdhsa_system_sgpr_workgroup_id_x 1
		.amdhsa_system_sgpr_workgroup_id_y 0
		.amdhsa_system_sgpr_workgroup_id_z 0
		.amdhsa_system_sgpr_workgroup_info 0
		.amdhsa_system_vgpr_workitem_id 0
		.amdhsa_next_free_vgpr 39
		.amdhsa_next_free_sgpr 51
		.amdhsa_reserve_vcc 1
		.amdhsa_reserve_flat_scratch 0
		.amdhsa_float_round_mode_32 0
		.amdhsa_float_round_mode_16_64 0
		.amdhsa_float_denorm_mode_32 3
		.amdhsa_float_denorm_mode_16_64 3
		.amdhsa_dx10_clamp 1
		.amdhsa_ieee_mode 1
		.amdhsa_fp16_overflow 0
		.amdhsa_workgroup_processor_mode 1
		.amdhsa_memory_ordered 1
		.amdhsa_forward_progress 1
		.amdhsa_shared_vgpr_count 0
		.amdhsa_exception_fp_ieee_invalid_op 0
		.amdhsa_exception_fp_denorm_src 0
		.amdhsa_exception_fp_ieee_div_zero 0
		.amdhsa_exception_fp_ieee_overflow 0
		.amdhsa_exception_fp_ieee_underflow 0
		.amdhsa_exception_fp_ieee_inexact 0
		.amdhsa_exception_int_div_zero 0
	.end_amdhsa_kernel
	.section	.text._ZN9rocsparseL17kernel_correctionILi1024ELi8EdiiEEvT3_T2_PKS2_S4_PKS1_PKT1_21rocsparse_index_base_S4_S4_S6_PS7_SA_S4_S4_S6_SB_SA_SB_PNS_15floating_traitsIS7_E6data_tEPKSE_,"axG",@progbits,_ZN9rocsparseL17kernel_correctionILi1024ELi8EdiiEEvT3_T2_PKS2_S4_PKS1_PKT1_21rocsparse_index_base_S4_S4_S6_PS7_SA_S4_S4_S6_SB_SA_SB_PNS_15floating_traitsIS7_E6data_tEPKSE_,comdat
.Lfunc_end24:
	.size	_ZN9rocsparseL17kernel_correctionILi1024ELi8EdiiEEvT3_T2_PKS2_S4_PKS1_PKT1_21rocsparse_index_base_S4_S4_S6_PS7_SA_S4_S4_S6_SB_SA_SB_PNS_15floating_traitsIS7_E6data_tEPKSE_, .Lfunc_end24-_ZN9rocsparseL17kernel_correctionILi1024ELi8EdiiEEvT3_T2_PKS2_S4_PKS1_PKT1_21rocsparse_index_base_S4_S4_S6_PS7_SA_S4_S4_S6_SB_SA_SB_PNS_15floating_traitsIS7_E6data_tEPKSE_
                                        ; -- End function
	.set _ZN9rocsparseL17kernel_correctionILi1024ELi8EdiiEEvT3_T2_PKS2_S4_PKS1_PKT1_21rocsparse_index_base_S4_S4_S6_PS7_SA_S4_S4_S6_SB_SA_SB_PNS_15floating_traitsIS7_E6data_tEPKSE_.num_vgpr, 39
	.set _ZN9rocsparseL17kernel_correctionILi1024ELi8EdiiEEvT3_T2_PKS2_S4_PKS1_PKT1_21rocsparse_index_base_S4_S4_S6_PS7_SA_S4_S4_S6_SB_SA_SB_PNS_15floating_traitsIS7_E6data_tEPKSE_.num_agpr, 0
	.set _ZN9rocsparseL17kernel_correctionILi1024ELi8EdiiEEvT3_T2_PKS2_S4_PKS1_PKT1_21rocsparse_index_base_S4_S4_S6_PS7_SA_S4_S4_S6_SB_SA_SB_PNS_15floating_traitsIS7_E6data_tEPKSE_.numbered_sgpr, 51
	.set _ZN9rocsparseL17kernel_correctionILi1024ELi8EdiiEEvT3_T2_PKS2_S4_PKS1_PKT1_21rocsparse_index_base_S4_S4_S6_PS7_SA_S4_S4_S6_SB_SA_SB_PNS_15floating_traitsIS7_E6data_tEPKSE_.num_named_barrier, 0
	.set _ZN9rocsparseL17kernel_correctionILi1024ELi8EdiiEEvT3_T2_PKS2_S4_PKS1_PKT1_21rocsparse_index_base_S4_S4_S6_PS7_SA_S4_S4_S6_SB_SA_SB_PNS_15floating_traitsIS7_E6data_tEPKSE_.private_seg_size, 0
	.set _ZN9rocsparseL17kernel_correctionILi1024ELi8EdiiEEvT3_T2_PKS2_S4_PKS1_PKT1_21rocsparse_index_base_S4_S4_S6_PS7_SA_S4_S4_S6_SB_SA_SB_PNS_15floating_traitsIS7_E6data_tEPKSE_.uses_vcc, 1
	.set _ZN9rocsparseL17kernel_correctionILi1024ELi8EdiiEEvT3_T2_PKS2_S4_PKS1_PKT1_21rocsparse_index_base_S4_S4_S6_PS7_SA_S4_S4_S6_SB_SA_SB_PNS_15floating_traitsIS7_E6data_tEPKSE_.uses_flat_scratch, 0
	.set _ZN9rocsparseL17kernel_correctionILi1024ELi8EdiiEEvT3_T2_PKS2_S4_PKS1_PKT1_21rocsparse_index_base_S4_S4_S6_PS7_SA_S4_S4_S6_SB_SA_SB_PNS_15floating_traitsIS7_E6data_tEPKSE_.has_dyn_sized_stack, 0
	.set _ZN9rocsparseL17kernel_correctionILi1024ELi8EdiiEEvT3_T2_PKS2_S4_PKS1_PKT1_21rocsparse_index_base_S4_S4_S6_PS7_SA_S4_S4_S6_SB_SA_SB_PNS_15floating_traitsIS7_E6data_tEPKSE_.has_recursion, 0
	.set _ZN9rocsparseL17kernel_correctionILi1024ELi8EdiiEEvT3_T2_PKS2_S4_PKS1_PKT1_21rocsparse_index_base_S4_S4_S6_PS7_SA_S4_S4_S6_SB_SA_SB_PNS_15floating_traitsIS7_E6data_tEPKSE_.has_indirect_call, 0
	.section	.AMDGPU.csdata,"",@progbits
; Kernel info:
; codeLenInByte = 3428
; TotalNumSgprs: 53
; NumVgprs: 39
; ScratchSize: 0
; MemoryBound: 1
; FloatMode: 240
; IeeeMode: 1
; LDSByteSize: 1024 bytes/workgroup (compile time only)
; SGPRBlocks: 0
; VGPRBlocks: 4
; NumSGPRsForWavesPerEU: 53
; NumVGPRsForWavesPerEU: 39
; Occupancy: 16
; WaveLimiterHint : 1
; COMPUTE_PGM_RSRC2:SCRATCH_EN: 0
; COMPUTE_PGM_RSRC2:USER_SGPR: 6
; COMPUTE_PGM_RSRC2:TRAP_HANDLER: 0
; COMPUTE_PGM_RSRC2:TGID_X_EN: 1
; COMPUTE_PGM_RSRC2:TGID_Y_EN: 0
; COMPUTE_PGM_RSRC2:TGID_Z_EN: 0
; COMPUTE_PGM_RSRC2:TIDIG_COMP_CNT: 0
	.section	.text._ZN9rocsparseL17kernel_correctionILi1024ELi16EdiiEEvT3_T2_PKS2_S4_PKS1_PKT1_21rocsparse_index_base_S4_S4_S6_PS7_SA_S4_S4_S6_SB_SA_SB_PNS_15floating_traitsIS7_E6data_tEPKSE_,"axG",@progbits,_ZN9rocsparseL17kernel_correctionILi1024ELi16EdiiEEvT3_T2_PKS2_S4_PKS1_PKT1_21rocsparse_index_base_S4_S4_S6_PS7_SA_S4_S4_S6_SB_SA_SB_PNS_15floating_traitsIS7_E6data_tEPKSE_,comdat
	.globl	_ZN9rocsparseL17kernel_correctionILi1024ELi16EdiiEEvT3_T2_PKS2_S4_PKS1_PKT1_21rocsparse_index_base_S4_S4_S6_PS7_SA_S4_S4_S6_SB_SA_SB_PNS_15floating_traitsIS7_E6data_tEPKSE_ ; -- Begin function _ZN9rocsparseL17kernel_correctionILi1024ELi16EdiiEEvT3_T2_PKS2_S4_PKS1_PKT1_21rocsparse_index_base_S4_S4_S6_PS7_SA_S4_S4_S6_SB_SA_SB_PNS_15floating_traitsIS7_E6data_tEPKSE_
	.p2align	8
	.type	_ZN9rocsparseL17kernel_correctionILi1024ELi16EdiiEEvT3_T2_PKS2_S4_PKS1_PKT1_21rocsparse_index_base_S4_S4_S6_PS7_SA_S4_S4_S6_SB_SA_SB_PNS_15floating_traitsIS7_E6data_tEPKSE_,@function
_ZN9rocsparseL17kernel_correctionILi1024ELi16EdiiEEvT3_T2_PKS2_S4_PKS1_PKT1_21rocsparse_index_base_S4_S4_S6_PS7_SA_S4_S4_S6_SB_SA_SB_PNS_15floating_traitsIS7_E6data_tEPKSE_: ; @_ZN9rocsparseL17kernel_correctionILi1024ELi16EdiiEEvT3_T2_PKS2_S4_PKS1_PKT1_21rocsparse_index_base_S4_S4_S6_PS7_SA_S4_S4_S6_SB_SA_SB_PNS_15floating_traitsIS7_E6data_tEPKSE_
; %bb.0:
	s_load_dword s33, s[4:5], 0x0
	v_lshrrev_b32_e32 v22, 4, v0
	s_lshl_b32 s35, s6, 10
	v_mov_b32_e32 v3, 0
	v_and_b32_e32 v23, 15, v0
	v_mov_b32_e32 v4, 0
	v_or_b32_e32 v1, s35, v22
	s_mov_b32 s3, exec_lo
	s_waitcnt lgkmcnt(0)
	v_cmpx_gt_i32_e64 s33, v1
	s_cbranch_execz .LBB25_64
; %bb.1:
	v_mov_b32_e32 v3, 0
	v_mov_b32_e32 v4, 0
	s_addk_i32 s35, 0x400
	s_mov_b32 s34, exec_lo
	v_cmpx_gt_u32_e64 s35, v1
	s_cbranch_execz .LBB25_63
; %bb.2:
	s_clause 0x6
	s_load_dword s36, s[4:5], 0x28
	s_load_dwordx8 s[8:15], s[4:5], 0x58
	s_load_dwordx8 s[16:23], s[4:5], 0x30
	;; [unrolled: 1-line block ×3, first 2 shown]
	s_load_dword s37, s[4:5], 0x50
	s_load_dwordx2 s[6:7], s[4:5], 0x80
	s_load_dword s38, s[4:5], 0x78
	v_mov_b32_e32 v3, 0
	v_mov_b32_e32 v4, 0
	;; [unrolled: 1-line block ×3, first 2 shown]
	s_mov_b32 s39, 0
	s_waitcnt lgkmcnt(0)
	v_subrev_nc_u32_e32 v24, s36, v23
	s_branch .LBB25_6
.LBB25_3:                               ;   in Loop: Header=BB25_6 Depth=1
	s_or_b32 exec_lo, exec_lo, s42
.LBB25_4:                               ;   in Loop: Header=BB25_6 Depth=1
	s_or_b32 exec_lo, exec_lo, s41
.LBB25_5:                               ;   in Loop: Header=BB25_6 Depth=1
	s_or_b32 exec_lo, exec_lo, s40
	v_add_nc_u32_e32 v1, 64, v1
	v_cmp_le_u32_e32 vcc_lo, s35, v1
	s_or_b32 s39, vcc_lo, s39
	s_andn2_b32 exec_lo, exec_lo, s39
	s_cbranch_execz .LBB25_62
.LBB25_6:                               ; =>This Loop Header: Depth=1
                                        ;     Child Loop BB25_10 Depth 2
                                        ;       Child Loop BB25_14 Depth 3
                                        ;       Child Loop BB25_27 Depth 3
	;; [unrolled: 1-line block ×5, first 2 shown]
	s_mov_b32 s40, exec_lo
	v_cmpx_gt_i32_e64 s33, v1
	s_cbranch_execz .LBB25_5
; %bb.7:                                ;   in Loop: Header=BB25_6 Depth=1
	v_ashrrev_i32_e32 v2, 31, v1
	s_mov_b32 s41, exec_lo
	v_lshlrev_b64 v[8:9], 2, v[1:2]
	v_add_co_u32 v10, vcc_lo, s24, v8
	v_add_co_ci_u32_e64 v11, null, s25, v9, vcc_lo
	v_add_co_u32 v12, vcc_lo, s26, v8
	v_add_co_ci_u32_e64 v13, null, s27, v9, vcc_lo
	global_load_dword v2, v[10:11], off
	global_load_dword v5, v[12:13], off
	s_waitcnt vmcnt(1)
	v_add_nc_u32_e32 v7, v24, v2
	s_waitcnt vmcnt(0)
	v_subrev_nc_u32_e32 v2, s36, v5
	v_cmpx_lt_i32_e64 v7, v2
	s_cbranch_execz .LBB25_4
; %bb.8:                                ;   in Loop: Header=BB25_6 Depth=1
	v_add_co_u32 v10, vcc_lo, s16, v8
	v_add_co_ci_u32_e64 v11, null, s17, v9, vcc_lo
	v_add_co_u32 v8, vcc_lo, s18, v8
	v_add_co_ci_u32_e64 v9, null, s19, v9, vcc_lo
	global_load_dword v5, v[10:11], off
	s_mov_b32 s42, 0
	global_load_dword v8, v[8:9], off
	s_waitcnt vmcnt(1)
	v_subrev_nc_u32_e32 v9, s37, v5
	s_waitcnt vmcnt(0)
	v_sub_nc_u32_e32 v25, v8, v5
	v_ashrrev_i32_e32 v10, 31, v9
	v_cmp_lt_i32_e64 s0, 0, v25
	v_lshlrev_b64 v[11:12], 2, v[9:10]
	v_lshlrev_b64 v[13:14], 3, v[9:10]
	v_add_co_u32 v26, vcc_lo, s20, v11
	v_add_co_ci_u32_e64 v27, null, s21, v12, vcc_lo
	v_add_co_u32 v28, vcc_lo, s22, v13
	v_add_co_ci_u32_e64 v29, null, s23, v14, vcc_lo
	s_branch .LBB25_10
.LBB25_9:                               ;   in Loop: Header=BB25_10 Depth=2
	s_or_b32 exec_lo, exec_lo, s2
	v_add_f64 v[10:11], v[16:17], -v[10:11]
	v_add_nc_u32_e32 v7, 16, v7
	v_cmp_ge_i32_e32 vcc_lo, v7, v2
	v_cmp_nlg_f64_e64 s1, 0x7ff00000, |v[10:11]|
	v_cmp_gt_f64_e64 s2, v[3:4], |v[10:11]|
	v_and_b32_e32 v5, 0x7fffffff, v11
	s_or_b32 s1, s1, s2
	s_or_b32 s42, vcc_lo, s42
	v_cndmask_b32_e64 v4, v5, v4, s1
	v_cndmask_b32_e64 v3, v10, v3, s1
	s_andn2_b32 exec_lo, exec_lo, s42
	s_cbranch_execz .LBB25_3
.LBB25_10:                              ;   Parent Loop BB25_6 Depth=1
                                        ; =>  This Loop Header: Depth=2
                                        ;       Child Loop BB25_14 Depth 3
                                        ;       Child Loop BB25_27 Depth 3
	;; [unrolled: 1-line block ×5, first 2 shown]
	v_ashrrev_i32_e32 v8, 31, v7
	v_lshlrev_b64 v[10:11], 2, v[7:8]
	v_add_co_u32 v10, vcc_lo, s28, v10
	v_add_co_ci_u32_e64 v11, null, s29, v11, vcc_lo
	global_load_dword v5, v[10:11], off
	s_waitcnt vmcnt(0)
	v_subrev_nc_u32_e32 v12, s36, v5
	v_ashrrev_i32_e32 v13, 31, v12
	v_lshlrev_b64 v[10:11], 2, v[12:13]
	v_add_co_u32 v14, vcc_lo, s8, v10
	v_add_co_ci_u32_e64 v15, null, s9, v11, vcc_lo
	v_add_co_u32 v10, vcc_lo, s10, v10
	v_add_co_ci_u32_e64 v11, null, s11, v11, vcc_lo
	global_load_dword v5, v[14:15], off
	global_load_dword v16, v[10:11], off
	v_mov_b32_e32 v15, 0
	v_mov_b32_e32 v10, 0
	v_mov_b32_e32 v11, 0
	s_waitcnt vmcnt(1)
	v_subrev_nc_u32_e32 v14, s38, v5
	s_waitcnt vmcnt(0)
	v_sub_nc_u32_e32 v30, v16, v5
	v_mov_b32_e32 v5, v15
	s_and_saveexec_b32 s2, s0
	s_cbranch_execz .LBB25_18
; %bb.11:                               ;   in Loop: Header=BB25_10 Depth=2
	v_ashrrev_i32_e32 v15, 31, v14
	v_mov_b32_e32 v10, 0
	v_mov_b32_e32 v11, 0
	;; [unrolled: 1-line block ×3, first 2 shown]
	s_mov_b32 s43, 0
	v_lshlrev_b64 v[17:18], 2, v[14:15]
	v_lshlrev_b64 v[15:16], 3, v[14:15]
                                        ; implicit-def: $sgpr44
	v_add_co_u32 v17, vcc_lo, s12, v17
	v_add_co_ci_u32_e64 v18, null, s13, v18, vcc_lo
	v_add_co_u32 v19, vcc_lo, s14, v15
	v_add_co_ci_u32_e64 v20, null, s15, v16, vcc_lo
	v_mov_b32_e32 v15, 0
	s_branch .LBB25_14
.LBB25_12:                              ;   in Loop: Header=BB25_14 Depth=3
	s_or_b32 exec_lo, exec_lo, s1
	v_cmp_le_i32_e32 vcc_lo, v21, v31
	v_cmp_ge_i32_e64 s1, v21, v31
	v_add_co_ci_u32_e64 v5, null, 0, v5, vcc_lo
	v_add_co_ci_u32_e64 v15, null, 0, v15, s1
	s_andn2_b32 s1, s44, exec_lo
	v_cmp_ge_i32_e32 vcc_lo, v5, v25
	s_and_b32 s44, vcc_lo, exec_lo
	s_or_b32 s44, s1, s44
.LBB25_13:                              ;   in Loop: Header=BB25_14 Depth=3
	s_or_b32 exec_lo, exec_lo, s45
	s_and_b32 s1, exec_lo, s44
	s_or_b32 s43, s1, s43
	s_andn2_b32 exec_lo, exec_lo, s43
	s_cbranch_execz .LBB25_17
.LBB25_14:                              ;   Parent Loop BB25_6 Depth=1
                                        ;     Parent Loop BB25_10 Depth=2
                                        ; =>    This Inner Loop Header: Depth=3
	s_or_b32 s44, s44, exec_lo
	s_mov_b32 s45, exec_lo
	v_cmpx_lt_i32_e64 v15, v30
	s_cbranch_execz .LBB25_13
; %bb.15:                               ;   in Loop: Header=BB25_14 Depth=3
	v_mov_b32_e32 v16, v6
	v_lshlrev_b64 v[31:32], 2, v[5:6]
	s_mov_b32 s1, exec_lo
	v_lshlrev_b64 v[33:34], 2, v[15:16]
	v_add_co_u32 v31, vcc_lo, v26, v31
	v_add_co_ci_u32_e64 v32, null, v27, v32, vcc_lo
	v_add_co_u32 v33, vcc_lo, v17, v33
	v_add_co_ci_u32_e64 v34, null, v18, v34, vcc_lo
	global_load_dword v21, v[31:32], off
	global_load_dword v31, v[33:34], off
	s_waitcnt vmcnt(1)
	v_subrev_nc_u32_e32 v21, s37, v21
	s_waitcnt vmcnt(0)
	v_subrev_nc_u32_e32 v31, s38, v31
	v_cmpx_eq_u32_e64 v21, v31
	s_cbranch_execz .LBB25_12
; %bb.16:                               ;   in Loop: Header=BB25_14 Depth=3
	v_lshlrev_b64 v[32:33], 3, v[5:6]
	v_lshlrev_b64 v[34:35], 3, v[15:16]
	v_add_co_u32 v32, vcc_lo, v28, v32
	v_add_co_ci_u32_e64 v33, null, v29, v33, vcc_lo
	v_add_co_u32 v34, vcc_lo, v19, v34
	v_add_co_ci_u32_e64 v35, null, v20, v35, vcc_lo
	global_load_dwordx2 v[32:33], v[32:33], off
	global_load_dwordx2 v[34:35], v[34:35], off
	s_waitcnt vmcnt(0)
	v_fma_f64 v[10:11], v[32:33], v[34:35], v[10:11]
	s_branch .LBB25_12
.LBB25_17:                              ;   in Loop: Header=BB25_10 Depth=2
	s_or_b32 exec_lo, exec_lo, s43
.LBB25_18:                              ;   in Loop: Header=BB25_10 Depth=2
	s_or_b32 exec_lo, exec_lo, s2
	v_lshlrev_b64 v[16:17], 3, v[7:8]
	v_cmp_le_i32_e64 s1, v1, v12
	s_mov_b32 s2, exec_lo
	v_add_co_u32 v16, vcc_lo, s30, v16
	v_add_co_ci_u32_e64 v17, null, s31, v17, vcc_lo
	global_load_dwordx2 v[16:17], v[16:17], off
	s_waitcnt vmcnt(0)
	v_add_f64 v[18:19], v[16:17], -v[10:11]
	v_cmpx_gt_i32_e64 v1, v12
	s_cbranch_execz .LBB25_20
; %bb.19:                               ;   in Loop: Header=BB25_10 Depth=2
	v_lshlrev_b64 v[20:21], 3, v[12:13]
	v_add_co_u32 v20, vcc_lo, s6, v20
	v_add_co_ci_u32_e64 v21, null, s7, v21, vcc_lo
	global_load_dwordx2 v[20:21], v[20:21], off
	s_waitcnt vmcnt(0)
	v_div_scale_f64 v[31:32], null, v[20:21], v[20:21], v[18:19]
	v_rcp_f64_e32 v[33:34], v[31:32]
	v_fma_f64 v[35:36], -v[31:32], v[33:34], 1.0
	v_fma_f64 v[33:34], v[33:34], v[35:36], v[33:34]
	v_fma_f64 v[35:36], -v[31:32], v[33:34], 1.0
	v_fma_f64 v[33:34], v[33:34], v[35:36], v[33:34]
	v_div_scale_f64 v[35:36], vcc_lo, v[18:19], v[20:21], v[18:19]
	v_mul_f64 v[37:38], v[35:36], v[33:34]
	v_fma_f64 v[31:32], -v[31:32], v[37:38], v[35:36]
	v_div_fmas_f64 v[31:32], v[31:32], v[33:34], v[37:38]
	v_div_fixup_f64 v[18:19], v[31:32], v[20:21], v[18:19]
.LBB25_20:                              ;   in Loop: Header=BB25_10 Depth=2
	s_or_b32 exec_lo, exec_lo, s2
	s_mov_b32 s43, exec_lo
	v_cmp_lt_i32_e32 vcc_lo, v15, v30
	v_cmpx_ge_i32_e64 v15, v30
	s_xor_b32 s43, exec_lo, s43
	s_cbranch_execnz .LBB25_24
; %bb.21:                               ;   in Loop: Header=BB25_10 Depth=2
	s_andn2_saveexec_b32 s43, s43
	s_cbranch_execnz .LBB25_33
.LBB25_22:                              ;   in Loop: Header=BB25_10 Depth=2
	s_or_b32 exec_lo, exec_lo, s43
	s_mov_b32 s43, exec_lo
	v_cmpx_eq_u32_e64 v1, v12
	s_cbranch_execnz .LBB25_40
.LBB25_23:                              ;   in Loop: Header=BB25_10 Depth=2
	s_or_b32 exec_lo, exec_lo, s43
	v_cmp_class_f64_e64 s43, v[18:19], 0x1f8
	s_and_saveexec_b32 s2, s43
	s_cbranch_execz .LBB25_9
	s_branch .LBB25_41
.LBB25_24:                              ;   in Loop: Header=BB25_10 Depth=2
	s_mov_b32 s44, exec_lo
	v_cmpx_lt_i32_e64 v5, v25
	s_cbranch_execz .LBB25_32
; %bb.25:                               ;   in Loop: Header=BB25_10 Depth=2
	v_mov_b32_e32 v8, v5
	s_mov_b32 s45, 0
                                        ; implicit-def: $sgpr46
                                        ; implicit-def: $sgpr48
                                        ; implicit-def: $sgpr47
	s_inst_prefetch 0x1
	s_branch .LBB25_27
	.p2align	6
.LBB25_26:                              ;   in Loop: Header=BB25_27 Depth=3
	s_or_b32 exec_lo, exec_lo, s49
	s_and_b32 s2, exec_lo, s48
	s_or_b32 s45, s2, s45
	s_andn2_b32 s2, s46, exec_lo
	s_and_b32 s46, s47, exec_lo
	s_or_b32 s46, s2, s46
	s_andn2_b32 exec_lo, exec_lo, s45
	s_cbranch_execz .LBB25_29
.LBB25_27:                              ;   Parent Loop BB25_6 Depth=1
                                        ;     Parent Loop BB25_10 Depth=2
                                        ; =>    This Inner Loop Header: Depth=3
	v_add_nc_u32_e32 v20, v9, v8
	s_or_b32 s47, s47, exec_lo
	s_or_b32 s48, s48, exec_lo
	s_mov_b32 s49, exec_lo
	v_ashrrev_i32_e32 v21, 31, v20
	v_lshlrev_b64 v[31:32], 2, v[20:21]
	v_add_co_u32 v31, s2, s20, v31
	v_add_co_ci_u32_e64 v32, null, s21, v32, s2
	global_load_dword v31, v[31:32], off
	s_waitcnt vmcnt(0)
	v_subrev_nc_u32_e32 v31, s37, v31
	v_cmpx_ne_u32_e64 v31, v12
	s_cbranch_execz .LBB25_26
; %bb.28:                               ;   in Loop: Header=BB25_27 Depth=3
	v_add_nc_u32_e32 v8, 1, v8
	s_andn2_b32 s48, s48, exec_lo
	s_andn2_b32 s47, s47, exec_lo
	v_cmp_ge_i32_e64 s2, v8, v25
	s_and_b32 s2, s2, exec_lo
	s_or_b32 s48, s48, s2
	s_branch .LBB25_26
.LBB25_29:                              ;   in Loop: Header=BB25_10 Depth=2
	s_inst_prefetch 0x2
	s_or_b32 exec_lo, exec_lo, s45
	s_and_saveexec_b32 s2, s46
	s_xor_b32 s45, exec_lo, s2
	s_cbranch_execz .LBB25_31
; %bb.30:                               ;   in Loop: Header=BB25_10 Depth=2
	v_lshlrev_b64 v[20:21], 3, v[20:21]
	v_lshlrev_b64 v[31:32], 3, v[12:13]
	v_add_co_u32 v20, s2, s22, v20
	v_add_co_ci_u32_e64 v21, null, s23, v21, s2
	v_add_co_u32 v31, s2, s6, v31
	v_add_co_ci_u32_e64 v32, null, s7, v32, s2
	global_load_dwordx2 v[20:21], v[20:21], off
	global_load_dwordx2 v[31:32], v[31:32], off
	s_waitcnt vmcnt(0)
	v_fma_f64 v[10:11], v[20:21], v[31:32], v[10:11]
.LBB25_31:                              ;   in Loop: Header=BB25_10 Depth=2
	s_or_b32 exec_lo, exec_lo, s45
.LBB25_32:                              ;   in Loop: Header=BB25_10 Depth=2
	s_or_b32 exec_lo, exec_lo, s44
	s_andn2_saveexec_b32 s43, s43
	s_cbranch_execz .LBB25_22
.LBB25_33:                              ;   in Loop: Header=BB25_10 Depth=2
	v_mov_b32_e32 v8, v15
	s_mov_b32 s44, 0
                                        ; implicit-def: $sgpr45
                                        ; implicit-def: $sgpr47
                                        ; implicit-def: $sgpr46
	s_inst_prefetch 0x1
	s_branch .LBB25_35
	.p2align	6
.LBB25_34:                              ;   in Loop: Header=BB25_35 Depth=3
	s_or_b32 exec_lo, exec_lo, s48
	s_and_b32 s2, exec_lo, s47
	s_or_b32 s44, s2, s44
	s_andn2_b32 s2, s45, exec_lo
	s_and_b32 s45, s46, exec_lo
	s_or_b32 s45, s2, s45
	s_andn2_b32 exec_lo, exec_lo, s44
	s_cbranch_execz .LBB25_37
.LBB25_35:                              ;   Parent Loop BB25_6 Depth=1
                                        ;     Parent Loop BB25_10 Depth=2
                                        ; =>    This Inner Loop Header: Depth=3
	v_add_nc_u32_e32 v20, v14, v8
	s_or_b32 s46, s46, exec_lo
	s_or_b32 s47, s47, exec_lo
	s_mov_b32 s48, exec_lo
	v_ashrrev_i32_e32 v21, 31, v20
	v_lshlrev_b64 v[31:32], 2, v[20:21]
	v_add_co_u32 v31, s2, s12, v31
	v_add_co_ci_u32_e64 v32, null, s13, v32, s2
	global_load_dword v31, v[31:32], off
	s_waitcnt vmcnt(0)
	v_subrev_nc_u32_e32 v31, s38, v31
	v_cmpx_ne_u32_e64 v31, v1
	s_cbranch_execz .LBB25_34
; %bb.36:                               ;   in Loop: Header=BB25_35 Depth=3
	v_add_nc_u32_e32 v8, 1, v8
	s_andn2_b32 s47, s47, exec_lo
	s_andn2_b32 s46, s46, exec_lo
	v_cmp_ge_i32_e64 s2, v8, v30
	s_and_b32 s2, s2, exec_lo
	s_or_b32 s47, s47, s2
	s_branch .LBB25_34
.LBB25_37:                              ;   in Loop: Header=BB25_10 Depth=2
	s_inst_prefetch 0x2
	s_or_b32 exec_lo, exec_lo, s44
	s_and_saveexec_b32 s2, s45
	s_xor_b32 s44, exec_lo, s2
	s_cbranch_execz .LBB25_39
; %bb.38:                               ;   in Loop: Header=BB25_10 Depth=2
	v_lshlrev_b64 v[20:21], 3, v[20:21]
	v_add_co_u32 v20, s2, s14, v20
	v_add_co_ci_u32_e64 v21, null, s15, v21, s2
	global_load_dwordx2 v[20:21], v[20:21], off
	s_waitcnt vmcnt(0)
	v_add_f64 v[10:11], v[10:11], v[20:21]
.LBB25_39:                              ;   in Loop: Header=BB25_10 Depth=2
	s_or_b32 exec_lo, exec_lo, s44
	s_or_b32 exec_lo, exec_lo, s43
	s_mov_b32 s43, exec_lo
	v_cmpx_eq_u32_e64 v1, v12
	s_cbranch_execz .LBB25_23
.LBB25_40:                              ;   in Loop: Header=BB25_10 Depth=2
	v_lshlrev_b64 v[20:21], 3, v[12:13]
	v_add_co_u32 v20, s2, s6, v20
	v_add_co_ci_u32_e64 v21, null, s7, v21, s2
	global_load_dwordx2 v[20:21], v[20:21], off
	s_waitcnt vmcnt(0)
	v_add_f64 v[10:11], v[10:11], v[20:21]
	s_or_b32 exec_lo, exec_lo, s43
	v_cmp_class_f64_e64 s43, v[18:19], 0x1f8
	s_and_saveexec_b32 s2, s43
	s_cbranch_execz .LBB25_9
.LBB25_41:                              ;   in Loop: Header=BB25_10 Depth=2
	s_and_saveexec_b32 s43, s1
	s_xor_b32 s43, exec_lo, s43
	s_cbranch_execz .LBB25_54
; %bb.42:                               ;   in Loop: Header=BB25_10 Depth=2
	s_mov_b32 s44, exec_lo
	v_cmpx_ge_i32_e64 v1, v12
	s_xor_b32 s44, exec_lo, s44
	s_cbranch_execz .LBB25_44
; %bb.43:                               ;   in Loop: Header=BB25_10 Depth=2
	v_lshlrev_b64 v[12:13], 3, v[12:13]
                                        ; implicit-def: $vgpr15
                                        ; implicit-def: $vgpr14
                                        ; implicit-def: $vgpr30
	v_add_co_u32 v12, s1, s6, v12
	v_add_co_ci_u32_e64 v13, null, s7, v13, s1
	global_store_dwordx2 v[12:13], v[18:19], off
                                        ; implicit-def: $vgpr18_vgpr19
.LBB25_44:                              ;   in Loop: Header=BB25_10 Depth=2
	s_andn2_saveexec_b32 s1, s44
	s_cbranch_execz .LBB25_53
; %bb.45:                               ;   in Loop: Header=BB25_10 Depth=2
	s_and_saveexec_b32 s44, vcc_lo
	s_cbranch_execz .LBB25_52
; %bb.46:                               ;   in Loop: Header=BB25_10 Depth=2
	s_mov_b32 s45, 0
                                        ; implicit-def: $sgpr46
                                        ; implicit-def: $sgpr48
                                        ; implicit-def: $sgpr47
	s_inst_prefetch 0x1
	s_branch .LBB25_48
	.p2align	6
.LBB25_47:                              ;   in Loop: Header=BB25_48 Depth=3
	s_or_b32 exec_lo, exec_lo, s49
	s_and_b32 s49, exec_lo, s48
	s_or_b32 s45, s49, s45
	s_andn2_b32 s46, s46, exec_lo
	s_and_b32 s49, s47, exec_lo
	s_or_b32 s46, s46, s49
	s_andn2_b32 exec_lo, exec_lo, s45
	s_cbranch_execz .LBB25_50
.LBB25_48:                              ;   Parent Loop BB25_6 Depth=1
                                        ;     Parent Loop BB25_10 Depth=2
                                        ; =>    This Inner Loop Header: Depth=3
	v_add_nc_u32_e32 v12, v14, v15
	s_or_b32 s47, s47, exec_lo
	s_or_b32 s48, s48, exec_lo
	s_mov_b32 s49, exec_lo
	v_ashrrev_i32_e32 v13, 31, v12
	v_lshlrev_b64 v[20:21], 2, v[12:13]
	v_add_co_u32 v20, vcc_lo, s12, v20
	v_add_co_ci_u32_e64 v21, null, s13, v21, vcc_lo
	global_load_dword v5, v[20:21], off
	s_waitcnt vmcnt(0)
	v_subrev_nc_u32_e32 v5, s38, v5
	v_cmpx_ne_u32_e64 v5, v1
	s_cbranch_execz .LBB25_47
; %bb.49:                               ;   in Loop: Header=BB25_48 Depth=3
	v_add_nc_u32_e32 v15, 1, v15
	s_andn2_b32 s48, s48, exec_lo
	s_andn2_b32 s47, s47, exec_lo
	v_cmp_ge_i32_e32 vcc_lo, v15, v30
	s_and_b32 s50, vcc_lo, exec_lo
	s_or_b32 s48, s48, s50
	s_branch .LBB25_47
.LBB25_50:                              ;   in Loop: Header=BB25_10 Depth=2
	s_inst_prefetch 0x2
	s_or_b32 exec_lo, exec_lo, s45
	s_and_saveexec_b32 s45, s46
	s_xor_b32 s45, exec_lo, s45
	s_cbranch_execz .LBB25_52
; %bb.51:                               ;   in Loop: Header=BB25_10 Depth=2
	v_lshlrev_b64 v[12:13], 3, v[12:13]
	v_add_co_u32 v12, vcc_lo, s14, v12
	v_add_co_ci_u32_e64 v13, null, s15, v13, vcc_lo
	global_store_dwordx2 v[12:13], v[18:19], off
.LBB25_52:                              ;   in Loop: Header=BB25_10 Depth=2
	s_or_b32 exec_lo, exec_lo, s44
.LBB25_53:                              ;   in Loop: Header=BB25_10 Depth=2
	s_or_b32 exec_lo, exec_lo, s1
                                        ; implicit-def: $vgpr18_vgpr19
                                        ; implicit-def: $vgpr12_vgpr13
.LBB25_54:                              ;   in Loop: Header=BB25_10 Depth=2
	s_andn2_saveexec_b32 s1, s43
	s_cbranch_execz .LBB25_9
; %bb.55:                               ;   in Loop: Header=BB25_10 Depth=2
	v_cmp_lt_i32_e32 vcc_lo, v5, v25
	s_and_b32 exec_lo, exec_lo, vcc_lo
	s_cbranch_execz .LBB25_9
; %bb.56:                               ;   in Loop: Header=BB25_10 Depth=2
	s_mov_b32 s1, 0
                                        ; implicit-def: $sgpr43
                                        ; implicit-def: $sgpr45
                                        ; implicit-def: $sgpr44
	s_inst_prefetch 0x1
	s_branch .LBB25_58
	.p2align	6
.LBB25_57:                              ;   in Loop: Header=BB25_58 Depth=3
	s_or_b32 exec_lo, exec_lo, s46
	s_and_b32 s46, exec_lo, s45
	s_or_b32 s1, s46, s1
	s_andn2_b32 s43, s43, exec_lo
	s_and_b32 s46, s44, exec_lo
	s_or_b32 s43, s43, s46
	s_andn2_b32 exec_lo, exec_lo, s1
	s_cbranch_execz .LBB25_60
.LBB25_58:                              ;   Parent Loop BB25_6 Depth=1
                                        ;     Parent Loop BB25_10 Depth=2
                                        ; =>    This Inner Loop Header: Depth=3
	v_add_nc_u32_e32 v13, v9, v5
	s_or_b32 s44, s44, exec_lo
	s_or_b32 s45, s45, exec_lo
	s_mov_b32 s46, exec_lo
	v_ashrrev_i32_e32 v14, 31, v13
	v_lshlrev_b64 v[20:21], 2, v[13:14]
	v_add_co_u32 v20, vcc_lo, s20, v20
	v_add_co_ci_u32_e64 v21, null, s21, v21, vcc_lo
	global_load_dword v8, v[20:21], off
	s_waitcnt vmcnt(0)
	v_subrev_nc_u32_e32 v8, s37, v8
	v_cmpx_ne_u32_e64 v8, v12
	s_cbranch_execz .LBB25_57
; %bb.59:                               ;   in Loop: Header=BB25_58 Depth=3
	v_add_nc_u32_e32 v5, 1, v5
	s_andn2_b32 s45, s45, exec_lo
	s_andn2_b32 s44, s44, exec_lo
	v_cmp_ge_i32_e32 vcc_lo, v5, v25
	s_and_b32 s47, vcc_lo, exec_lo
	s_or_b32 s45, s45, s47
	s_branch .LBB25_57
.LBB25_60:                              ;   in Loop: Header=BB25_10 Depth=2
	s_inst_prefetch 0x2
	s_or_b32 exec_lo, exec_lo, s1
	s_and_saveexec_b32 s1, s43
	s_xor_b32 s1, exec_lo, s1
	s_cbranch_execz .LBB25_9
; %bb.61:                               ;   in Loop: Header=BB25_10 Depth=2
	v_lshlrev_b64 v[12:13], 3, v[13:14]
	v_add_co_u32 v12, vcc_lo, s22, v12
	v_add_co_ci_u32_e64 v13, null, s23, v13, vcc_lo
	global_store_dwordx2 v[12:13], v[18:19], off
	s_branch .LBB25_9
.LBB25_62:
	s_or_b32 exec_lo, exec_lo, s39
.LBB25_63:
	s_or_b32 exec_lo, exec_lo, s34
.LBB25_64:
	s_or_b32 exec_lo, exec_lo, s3
	v_mbcnt_lo_u32_b32 v5, -1, 0
	v_xor_b32_e32 v1, 8, v5
	v_xor_b32_e32 v6, 4, v5
	v_cmp_gt_i32_e32 vcc_lo, 32, v1
	v_cmp_gt_i32_e64 s0, 32, v6
	v_cndmask_b32_e32 v1, v5, v1, vcc_lo
	v_cndmask_b32_e64 v6, v5, v6, s0
	v_lshlrev_b32_e32 v2, 2, v1
	v_lshlrev_b32_e32 v6, 2, v6
	ds_bpermute_b32 v1, v2, v3
	ds_bpermute_b32 v2, v2, v4
	s_waitcnt lgkmcnt(0)
	v_cmp_lt_f64_e32 vcc_lo, v[3:4], v[1:2]
	v_cndmask_b32_e32 v2, v4, v2, vcc_lo
	v_cndmask_b32_e32 v1, v3, v1, vcc_lo
	ds_bpermute_b32 v4, v6, v2
	ds_bpermute_b32 v3, v6, v1
	v_xor_b32_e32 v6, 2, v5
	v_cmp_gt_i32_e64 s0, 32, v6
	v_cndmask_b32_e64 v6, v5, v6, s0
	v_lshlrev_b32_e32 v6, 2, v6
	s_waitcnt lgkmcnt(0)
	v_cmp_lt_f64_e32 vcc_lo, v[1:2], v[3:4]
	v_cndmask_b32_e32 v2, v2, v4, vcc_lo
	v_cndmask_b32_e32 v1, v1, v3, vcc_lo
	ds_bpermute_b32 v4, v6, v2
	ds_bpermute_b32 v3, v6, v1
	v_xor_b32_e32 v6, 1, v5
	v_cmp_gt_i32_e64 s0, 32, v6
	v_cndmask_b32_e64 v5, v5, v6, s0
	s_mov_b32 s0, exec_lo
	v_lshlrev_b32_e32 v5, 2, v5
	s_waitcnt lgkmcnt(0)
	v_cmp_lt_f64_e32 vcc_lo, v[1:2], v[3:4]
	v_cndmask_b32_e32 v2, v2, v4, vcc_lo
	v_cndmask_b32_e32 v1, v1, v3, vcc_lo
	ds_bpermute_b32 v3, v5, v1
	ds_bpermute_b32 v5, v5, v2
	v_cmpx_eq_u32_e32 15, v23
	s_cbranch_execz .LBB25_66
; %bb.65:
	s_waitcnt lgkmcnt(0)
	v_mov_b32_e32 v4, v5
	v_cmp_lt_f64_e32 vcc_lo, v[1:2], v[3:4]
	v_lshlrev_b32_e32 v4, 3, v22
	v_cndmask_b32_e32 v2, v2, v5, vcc_lo
	v_cndmask_b32_e32 v1, v1, v3, vcc_lo
	ds_write_b64 v4, v[1:2]
.LBB25_66:
	s_or_b32 exec_lo, exec_lo, s0
	v_lshlrev_b32_e32 v1, 3, v0
	s_mov_b32 s0, exec_lo
	s_waitcnt lgkmcnt(0)
	s_waitcnt_vscnt null, 0x0
	s_barrier
	buffer_gl0_inv
	v_cmpx_gt_u32_e32 32, v0
	s_cbranch_execz .LBB25_68
; %bb.67:
	ds_read2_b64 v[2:5], v1 offset1:32
	s_waitcnt lgkmcnt(0)
	v_cmp_lt_f64_e32 vcc_lo, v[2:3], v[4:5]
	v_cndmask_b32_e32 v3, v3, v5, vcc_lo
	v_cndmask_b32_e32 v2, v2, v4, vcc_lo
	ds_write_b64 v1, v[2:3]
.LBB25_68:
	s_or_b32 exec_lo, exec_lo, s0
	s_mov_b32 s0, exec_lo
	s_waitcnt lgkmcnt(0)
	s_barrier
	buffer_gl0_inv
	v_cmpx_gt_u32_e32 16, v0
	s_cbranch_execz .LBB25_70
; %bb.69:
	ds_read2_b64 v[2:5], v1 offset1:16
	s_waitcnt lgkmcnt(0)
	v_cmp_lt_f64_e32 vcc_lo, v[2:3], v[4:5]
	v_cndmask_b32_e32 v3, v3, v5, vcc_lo
	v_cndmask_b32_e32 v2, v2, v4, vcc_lo
	ds_write_b64 v1, v[2:3]
.LBB25_70:
	s_or_b32 exec_lo, exec_lo, s0
	s_mov_b32 s0, exec_lo
	s_waitcnt lgkmcnt(0)
	;; [unrolled: 15-line block ×4, first 2 shown]
	s_barrier
	buffer_gl0_inv
	v_cmpx_gt_u32_e32 2, v0
	s_cbranch_execz .LBB25_76
; %bb.75:
	ds_read2_b64 v[2:5], v1 offset1:2
	s_waitcnt lgkmcnt(0)
	v_cmp_lt_f64_e32 vcc_lo, v[2:3], v[4:5]
	v_cndmask_b32_e32 v3, v3, v5, vcc_lo
	v_cndmask_b32_e32 v2, v2, v4, vcc_lo
	ds_write_b64 v1, v[2:3]
.LBB25_76:
	s_or_b32 exec_lo, exec_lo, s0
	v_cmp_eq_u32_e32 vcc_lo, 0, v0
	s_waitcnt lgkmcnt(0)
	s_barrier
	buffer_gl0_inv
	s_and_saveexec_b32 s1, vcc_lo
	s_cbranch_execz .LBB25_78
; %bb.77:
	v_mov_b32_e32 v4, 0
	ds_read_b128 v[0:3], v4
	s_waitcnt lgkmcnt(0)
	v_cmp_lt_f64_e64 s0, v[0:1], v[2:3]
	v_cndmask_b32_e64 v1, v1, v3, s0
	v_cndmask_b32_e64 v0, v0, v2, s0
	ds_write_b64 v4, v[0:1]
.LBB25_78:
	s_or_b32 exec_lo, exec_lo, s1
	s_waitcnt lgkmcnt(0)
	s_barrier
	buffer_gl0_inv
	s_and_saveexec_b32 s0, vcc_lo
	s_cbranch_execz .LBB25_82
; %bb.79:
	v_mbcnt_lo_u32_b32 v0, exec_lo, 0
	s_mov_b32 s6, 0
	v_cmp_eq_u32_e32 vcc_lo, 0, v0
	s_and_b32 exec_lo, exec_lo, vcc_lo
	s_cbranch_execz .LBB25_82
; %bb.80:
	s_load_dwordx4 s[0:3], s[4:5], 0x88
	v_mov_b32_e32 v6, 0
	ds_read_b64 v[0:1], v6
	s_waitcnt lgkmcnt(0)
	s_load_dwordx2 s[2:3], s[2:3], 0x0
	s_waitcnt lgkmcnt(0)
	v_div_scale_f64 v[2:3], null, s[2:3], s[2:3], v[0:1]
	v_rcp_f64_e32 v[4:5], v[2:3]
	v_fma_f64 v[7:8], -v[2:3], v[4:5], 1.0
	v_fma_f64 v[4:5], v[4:5], v[7:8], v[4:5]
	v_fma_f64 v[7:8], -v[2:3], v[4:5], 1.0
	v_fma_f64 v[4:5], v[4:5], v[7:8], v[4:5]
	v_div_scale_f64 v[7:8], vcc_lo, v[0:1], s[2:3], v[0:1]
	v_mul_f64 v[9:10], v[7:8], v[4:5]
	v_fma_f64 v[2:3], -v[2:3], v[9:10], v[7:8]
	v_div_fmas_f64 v[2:3], v[2:3], v[4:5], v[9:10]
	v_div_fixup_f64 v[0:1], v[2:3], s[2:3], v[0:1]
	s_load_dwordx2 s[2:3], s[0:1], 0x0
	s_waitcnt lgkmcnt(0)
	v_mov_b32_e32 v2, s2
	v_max_f64 v[4:5], v[0:1], v[0:1]
	v_mov_b32_e32 v3, s3
.LBB25_81:                              ; =>This Inner Loop Header: Depth=1
	v_max_f64 v[0:1], v[2:3], v[2:3]
	v_max_f64 v[0:1], v[0:1], v[4:5]
	global_atomic_cmpswap_x2 v[0:1], v6, v[0:3], s[0:1] glc
	s_waitcnt vmcnt(0)
	v_cmp_eq_u64_e32 vcc_lo, v[0:1], v[2:3]
	v_mov_b32_e32 v3, v1
	v_mov_b32_e32 v2, v0
	s_or_b32 s6, vcc_lo, s6
	s_andn2_b32 exec_lo, exec_lo, s6
	s_cbranch_execnz .LBB25_81
.LBB25_82:
	s_endpgm
	.section	.rodata,"a",@progbits
	.p2align	6, 0x0
	.amdhsa_kernel _ZN9rocsparseL17kernel_correctionILi1024ELi16EdiiEEvT3_T2_PKS2_S4_PKS1_PKT1_21rocsparse_index_base_S4_S4_S6_PS7_SA_S4_S4_S6_SB_SA_SB_PNS_15floating_traitsIS7_E6data_tEPKSE_
		.amdhsa_group_segment_fixed_size 512
		.amdhsa_private_segment_fixed_size 0
		.amdhsa_kernarg_size 152
		.amdhsa_user_sgpr_count 6
		.amdhsa_user_sgpr_private_segment_buffer 1
		.amdhsa_user_sgpr_dispatch_ptr 0
		.amdhsa_user_sgpr_queue_ptr 0
		.amdhsa_user_sgpr_kernarg_segment_ptr 1
		.amdhsa_user_sgpr_dispatch_id 0
		.amdhsa_user_sgpr_flat_scratch_init 0
		.amdhsa_user_sgpr_private_segment_size 0
		.amdhsa_wavefront_size32 1
		.amdhsa_uses_dynamic_stack 0
		.amdhsa_system_sgpr_private_segment_wavefront_offset 0
		.amdhsa_system_sgpr_workgroup_id_x 1
		.amdhsa_system_sgpr_workgroup_id_y 0
		.amdhsa_system_sgpr_workgroup_id_z 0
		.amdhsa_system_sgpr_workgroup_info 0
		.amdhsa_system_vgpr_workitem_id 0
		.amdhsa_next_free_vgpr 39
		.amdhsa_next_free_sgpr 51
		.amdhsa_reserve_vcc 1
		.amdhsa_reserve_flat_scratch 0
		.amdhsa_float_round_mode_32 0
		.amdhsa_float_round_mode_16_64 0
		.amdhsa_float_denorm_mode_32 3
		.amdhsa_float_denorm_mode_16_64 3
		.amdhsa_dx10_clamp 1
		.amdhsa_ieee_mode 1
		.amdhsa_fp16_overflow 0
		.amdhsa_workgroup_processor_mode 1
		.amdhsa_memory_ordered 1
		.amdhsa_forward_progress 1
		.amdhsa_shared_vgpr_count 0
		.amdhsa_exception_fp_ieee_invalid_op 0
		.amdhsa_exception_fp_denorm_src 0
		.amdhsa_exception_fp_ieee_div_zero 0
		.amdhsa_exception_fp_ieee_overflow 0
		.amdhsa_exception_fp_ieee_underflow 0
		.amdhsa_exception_fp_ieee_inexact 0
		.amdhsa_exception_int_div_zero 0
	.end_amdhsa_kernel
	.section	.text._ZN9rocsparseL17kernel_correctionILi1024ELi16EdiiEEvT3_T2_PKS2_S4_PKS1_PKT1_21rocsparse_index_base_S4_S4_S6_PS7_SA_S4_S4_S6_SB_SA_SB_PNS_15floating_traitsIS7_E6data_tEPKSE_,"axG",@progbits,_ZN9rocsparseL17kernel_correctionILi1024ELi16EdiiEEvT3_T2_PKS2_S4_PKS1_PKT1_21rocsparse_index_base_S4_S4_S6_PS7_SA_S4_S4_S6_SB_SA_SB_PNS_15floating_traitsIS7_E6data_tEPKSE_,comdat
.Lfunc_end25:
	.size	_ZN9rocsparseL17kernel_correctionILi1024ELi16EdiiEEvT3_T2_PKS2_S4_PKS1_PKT1_21rocsparse_index_base_S4_S4_S6_PS7_SA_S4_S4_S6_SB_SA_SB_PNS_15floating_traitsIS7_E6data_tEPKSE_, .Lfunc_end25-_ZN9rocsparseL17kernel_correctionILi1024ELi16EdiiEEvT3_T2_PKS2_S4_PKS1_PKT1_21rocsparse_index_base_S4_S4_S6_PS7_SA_S4_S4_S6_SB_SA_SB_PNS_15floating_traitsIS7_E6data_tEPKSE_
                                        ; -- End function
	.set _ZN9rocsparseL17kernel_correctionILi1024ELi16EdiiEEvT3_T2_PKS2_S4_PKS1_PKT1_21rocsparse_index_base_S4_S4_S6_PS7_SA_S4_S4_S6_SB_SA_SB_PNS_15floating_traitsIS7_E6data_tEPKSE_.num_vgpr, 39
	.set _ZN9rocsparseL17kernel_correctionILi1024ELi16EdiiEEvT3_T2_PKS2_S4_PKS1_PKT1_21rocsparse_index_base_S4_S4_S6_PS7_SA_S4_S4_S6_SB_SA_SB_PNS_15floating_traitsIS7_E6data_tEPKSE_.num_agpr, 0
	.set _ZN9rocsparseL17kernel_correctionILi1024ELi16EdiiEEvT3_T2_PKS2_S4_PKS1_PKT1_21rocsparse_index_base_S4_S4_S6_PS7_SA_S4_S4_S6_SB_SA_SB_PNS_15floating_traitsIS7_E6data_tEPKSE_.numbered_sgpr, 51
	.set _ZN9rocsparseL17kernel_correctionILi1024ELi16EdiiEEvT3_T2_PKS2_S4_PKS1_PKT1_21rocsparse_index_base_S4_S4_S6_PS7_SA_S4_S4_S6_SB_SA_SB_PNS_15floating_traitsIS7_E6data_tEPKSE_.num_named_barrier, 0
	.set _ZN9rocsparseL17kernel_correctionILi1024ELi16EdiiEEvT3_T2_PKS2_S4_PKS1_PKT1_21rocsparse_index_base_S4_S4_S6_PS7_SA_S4_S4_S6_SB_SA_SB_PNS_15floating_traitsIS7_E6data_tEPKSE_.private_seg_size, 0
	.set _ZN9rocsparseL17kernel_correctionILi1024ELi16EdiiEEvT3_T2_PKS2_S4_PKS1_PKT1_21rocsparse_index_base_S4_S4_S6_PS7_SA_S4_S4_S6_SB_SA_SB_PNS_15floating_traitsIS7_E6data_tEPKSE_.uses_vcc, 1
	.set _ZN9rocsparseL17kernel_correctionILi1024ELi16EdiiEEvT3_T2_PKS2_S4_PKS1_PKT1_21rocsparse_index_base_S4_S4_S6_PS7_SA_S4_S4_S6_SB_SA_SB_PNS_15floating_traitsIS7_E6data_tEPKSE_.uses_flat_scratch, 0
	.set _ZN9rocsparseL17kernel_correctionILi1024ELi16EdiiEEvT3_T2_PKS2_S4_PKS1_PKT1_21rocsparse_index_base_S4_S4_S6_PS7_SA_S4_S4_S6_SB_SA_SB_PNS_15floating_traitsIS7_E6data_tEPKSE_.has_dyn_sized_stack, 0
	.set _ZN9rocsparseL17kernel_correctionILi1024ELi16EdiiEEvT3_T2_PKS2_S4_PKS1_PKT1_21rocsparse_index_base_S4_S4_S6_PS7_SA_S4_S4_S6_SB_SA_SB_PNS_15floating_traitsIS7_E6data_tEPKSE_.has_recursion, 0
	.set _ZN9rocsparseL17kernel_correctionILi1024ELi16EdiiEEvT3_T2_PKS2_S4_PKS1_PKT1_21rocsparse_index_base_S4_S4_S6_PS7_SA_S4_S4_S6_SB_SA_SB_PNS_15floating_traitsIS7_E6data_tEPKSE_.has_indirect_call, 0
	.section	.AMDGPU.csdata,"",@progbits
; Kernel info:
; codeLenInByte = 3420
; TotalNumSgprs: 53
; NumVgprs: 39
; ScratchSize: 0
; MemoryBound: 1
; FloatMode: 240
; IeeeMode: 1
; LDSByteSize: 512 bytes/workgroup (compile time only)
; SGPRBlocks: 0
; VGPRBlocks: 4
; NumSGPRsForWavesPerEU: 53
; NumVGPRsForWavesPerEU: 39
; Occupancy: 16
; WaveLimiterHint : 1
; COMPUTE_PGM_RSRC2:SCRATCH_EN: 0
; COMPUTE_PGM_RSRC2:USER_SGPR: 6
; COMPUTE_PGM_RSRC2:TRAP_HANDLER: 0
; COMPUTE_PGM_RSRC2:TGID_X_EN: 1
; COMPUTE_PGM_RSRC2:TGID_Y_EN: 0
; COMPUTE_PGM_RSRC2:TGID_Z_EN: 0
; COMPUTE_PGM_RSRC2:TIDIG_COMP_CNT: 0
	.section	.text._ZN9rocsparseL17kernel_correctionILi1024ELi32EdiiEEvT3_T2_PKS2_S4_PKS1_PKT1_21rocsparse_index_base_S4_S4_S6_PS7_SA_S4_S4_S6_SB_SA_SB_PNS_15floating_traitsIS7_E6data_tEPKSE_,"axG",@progbits,_ZN9rocsparseL17kernel_correctionILi1024ELi32EdiiEEvT3_T2_PKS2_S4_PKS1_PKT1_21rocsparse_index_base_S4_S4_S6_PS7_SA_S4_S4_S6_SB_SA_SB_PNS_15floating_traitsIS7_E6data_tEPKSE_,comdat
	.globl	_ZN9rocsparseL17kernel_correctionILi1024ELi32EdiiEEvT3_T2_PKS2_S4_PKS1_PKT1_21rocsparse_index_base_S4_S4_S6_PS7_SA_S4_S4_S6_SB_SA_SB_PNS_15floating_traitsIS7_E6data_tEPKSE_ ; -- Begin function _ZN9rocsparseL17kernel_correctionILi1024ELi32EdiiEEvT3_T2_PKS2_S4_PKS1_PKT1_21rocsparse_index_base_S4_S4_S6_PS7_SA_S4_S4_S6_SB_SA_SB_PNS_15floating_traitsIS7_E6data_tEPKSE_
	.p2align	8
	.type	_ZN9rocsparseL17kernel_correctionILi1024ELi32EdiiEEvT3_T2_PKS2_S4_PKS1_PKT1_21rocsparse_index_base_S4_S4_S6_PS7_SA_S4_S4_S6_SB_SA_SB_PNS_15floating_traitsIS7_E6data_tEPKSE_,@function
_ZN9rocsparseL17kernel_correctionILi1024ELi32EdiiEEvT3_T2_PKS2_S4_PKS1_PKT1_21rocsparse_index_base_S4_S4_S6_PS7_SA_S4_S4_S6_SB_SA_SB_PNS_15floating_traitsIS7_E6data_tEPKSE_: ; @_ZN9rocsparseL17kernel_correctionILi1024ELi32EdiiEEvT3_T2_PKS2_S4_PKS1_PKT1_21rocsparse_index_base_S4_S4_S6_PS7_SA_S4_S4_S6_SB_SA_SB_PNS_15floating_traitsIS7_E6data_tEPKSE_
; %bb.0:
	s_load_dword s33, s[4:5], 0x0
	v_lshrrev_b32_e32 v22, 5, v0
	s_lshl_b32 s35, s6, 10
	v_mov_b32_e32 v3, 0
	v_and_b32_e32 v23, 31, v0
	v_mov_b32_e32 v4, 0
	v_or_b32_e32 v1, s35, v22
	s_mov_b32 s3, exec_lo
	s_waitcnt lgkmcnt(0)
	v_cmpx_gt_i32_e64 s33, v1
	s_cbranch_execz .LBB26_64
; %bb.1:
	v_mov_b32_e32 v3, 0
	v_mov_b32_e32 v4, 0
	s_addk_i32 s35, 0x400
	s_mov_b32 s34, exec_lo
	v_cmpx_gt_u32_e64 s35, v1
	s_cbranch_execz .LBB26_63
; %bb.2:
	s_clause 0x6
	s_load_dword s36, s[4:5], 0x28
	s_load_dwordx8 s[8:15], s[4:5], 0x58
	s_load_dwordx8 s[16:23], s[4:5], 0x30
	;; [unrolled: 1-line block ×3, first 2 shown]
	s_load_dword s37, s[4:5], 0x50
	s_load_dwordx2 s[6:7], s[4:5], 0x80
	s_load_dword s38, s[4:5], 0x78
	v_mov_b32_e32 v3, 0
	v_mov_b32_e32 v4, 0
	;; [unrolled: 1-line block ×3, first 2 shown]
	s_mov_b32 s39, 0
	s_waitcnt lgkmcnt(0)
	v_subrev_nc_u32_e32 v24, s36, v23
	s_branch .LBB26_6
.LBB26_3:                               ;   in Loop: Header=BB26_6 Depth=1
	s_or_b32 exec_lo, exec_lo, s42
.LBB26_4:                               ;   in Loop: Header=BB26_6 Depth=1
	s_or_b32 exec_lo, exec_lo, s41
.LBB26_5:                               ;   in Loop: Header=BB26_6 Depth=1
	s_or_b32 exec_lo, exec_lo, s40
	v_add_nc_u32_e32 v1, 32, v1
	v_cmp_le_u32_e32 vcc_lo, s35, v1
	s_or_b32 s39, vcc_lo, s39
	s_andn2_b32 exec_lo, exec_lo, s39
	s_cbranch_execz .LBB26_62
.LBB26_6:                               ; =>This Loop Header: Depth=1
                                        ;     Child Loop BB26_10 Depth 2
                                        ;       Child Loop BB26_14 Depth 3
                                        ;       Child Loop BB26_27 Depth 3
                                        ;       Child Loop BB26_35 Depth 3
                                        ;       Child Loop BB26_48 Depth 3
                                        ;       Child Loop BB26_58 Depth 3
	s_mov_b32 s40, exec_lo
	v_cmpx_gt_i32_e64 s33, v1
	s_cbranch_execz .LBB26_5
; %bb.7:                                ;   in Loop: Header=BB26_6 Depth=1
	v_ashrrev_i32_e32 v2, 31, v1
	s_mov_b32 s41, exec_lo
	v_lshlrev_b64 v[8:9], 2, v[1:2]
	v_add_co_u32 v10, vcc_lo, s24, v8
	v_add_co_ci_u32_e64 v11, null, s25, v9, vcc_lo
	v_add_co_u32 v12, vcc_lo, s26, v8
	v_add_co_ci_u32_e64 v13, null, s27, v9, vcc_lo
	global_load_dword v2, v[10:11], off
	global_load_dword v5, v[12:13], off
	s_waitcnt vmcnt(1)
	v_add_nc_u32_e32 v7, v24, v2
	s_waitcnt vmcnt(0)
	v_subrev_nc_u32_e32 v2, s36, v5
	v_cmpx_lt_i32_e64 v7, v2
	s_cbranch_execz .LBB26_4
; %bb.8:                                ;   in Loop: Header=BB26_6 Depth=1
	v_add_co_u32 v10, vcc_lo, s16, v8
	v_add_co_ci_u32_e64 v11, null, s17, v9, vcc_lo
	v_add_co_u32 v8, vcc_lo, s18, v8
	v_add_co_ci_u32_e64 v9, null, s19, v9, vcc_lo
	global_load_dword v5, v[10:11], off
	s_mov_b32 s42, 0
	global_load_dword v8, v[8:9], off
	s_waitcnt vmcnt(1)
	v_subrev_nc_u32_e32 v9, s37, v5
	s_waitcnt vmcnt(0)
	v_sub_nc_u32_e32 v25, v8, v5
	v_ashrrev_i32_e32 v10, 31, v9
	v_cmp_lt_i32_e64 s0, 0, v25
	v_lshlrev_b64 v[11:12], 2, v[9:10]
	v_lshlrev_b64 v[13:14], 3, v[9:10]
	v_add_co_u32 v26, vcc_lo, s20, v11
	v_add_co_ci_u32_e64 v27, null, s21, v12, vcc_lo
	v_add_co_u32 v28, vcc_lo, s22, v13
	v_add_co_ci_u32_e64 v29, null, s23, v14, vcc_lo
	s_branch .LBB26_10
.LBB26_9:                               ;   in Loop: Header=BB26_10 Depth=2
	s_or_b32 exec_lo, exec_lo, s2
	v_add_f64 v[10:11], v[16:17], -v[10:11]
	v_add_nc_u32_e32 v7, 32, v7
	v_cmp_ge_i32_e32 vcc_lo, v7, v2
	v_cmp_nlg_f64_e64 s1, 0x7ff00000, |v[10:11]|
	v_cmp_gt_f64_e64 s2, v[3:4], |v[10:11]|
	v_and_b32_e32 v5, 0x7fffffff, v11
	s_or_b32 s1, s1, s2
	s_or_b32 s42, vcc_lo, s42
	v_cndmask_b32_e64 v4, v5, v4, s1
	v_cndmask_b32_e64 v3, v10, v3, s1
	s_andn2_b32 exec_lo, exec_lo, s42
	s_cbranch_execz .LBB26_3
.LBB26_10:                              ;   Parent Loop BB26_6 Depth=1
                                        ; =>  This Loop Header: Depth=2
                                        ;       Child Loop BB26_14 Depth 3
                                        ;       Child Loop BB26_27 Depth 3
	;; [unrolled: 1-line block ×5, first 2 shown]
	v_ashrrev_i32_e32 v8, 31, v7
	v_lshlrev_b64 v[10:11], 2, v[7:8]
	v_add_co_u32 v10, vcc_lo, s28, v10
	v_add_co_ci_u32_e64 v11, null, s29, v11, vcc_lo
	global_load_dword v5, v[10:11], off
	s_waitcnt vmcnt(0)
	v_subrev_nc_u32_e32 v12, s36, v5
	v_ashrrev_i32_e32 v13, 31, v12
	v_lshlrev_b64 v[10:11], 2, v[12:13]
	v_add_co_u32 v14, vcc_lo, s8, v10
	v_add_co_ci_u32_e64 v15, null, s9, v11, vcc_lo
	v_add_co_u32 v10, vcc_lo, s10, v10
	v_add_co_ci_u32_e64 v11, null, s11, v11, vcc_lo
	global_load_dword v5, v[14:15], off
	global_load_dword v16, v[10:11], off
	v_mov_b32_e32 v15, 0
	v_mov_b32_e32 v10, 0
	;; [unrolled: 1-line block ×3, first 2 shown]
	s_waitcnt vmcnt(1)
	v_subrev_nc_u32_e32 v14, s38, v5
	s_waitcnt vmcnt(0)
	v_sub_nc_u32_e32 v30, v16, v5
	v_mov_b32_e32 v5, v15
	s_and_saveexec_b32 s2, s0
	s_cbranch_execz .LBB26_18
; %bb.11:                               ;   in Loop: Header=BB26_10 Depth=2
	v_ashrrev_i32_e32 v15, 31, v14
	v_mov_b32_e32 v10, 0
	v_mov_b32_e32 v11, 0
	;; [unrolled: 1-line block ×3, first 2 shown]
	s_mov_b32 s43, 0
	v_lshlrev_b64 v[17:18], 2, v[14:15]
	v_lshlrev_b64 v[15:16], 3, v[14:15]
                                        ; implicit-def: $sgpr44
	v_add_co_u32 v17, vcc_lo, s12, v17
	v_add_co_ci_u32_e64 v18, null, s13, v18, vcc_lo
	v_add_co_u32 v19, vcc_lo, s14, v15
	v_add_co_ci_u32_e64 v20, null, s15, v16, vcc_lo
	v_mov_b32_e32 v15, 0
	s_branch .LBB26_14
.LBB26_12:                              ;   in Loop: Header=BB26_14 Depth=3
	s_or_b32 exec_lo, exec_lo, s1
	v_cmp_le_i32_e32 vcc_lo, v21, v31
	v_cmp_ge_i32_e64 s1, v21, v31
	v_add_co_ci_u32_e64 v5, null, 0, v5, vcc_lo
	v_add_co_ci_u32_e64 v15, null, 0, v15, s1
	s_andn2_b32 s1, s44, exec_lo
	v_cmp_ge_i32_e32 vcc_lo, v5, v25
	s_and_b32 s44, vcc_lo, exec_lo
	s_or_b32 s44, s1, s44
.LBB26_13:                              ;   in Loop: Header=BB26_14 Depth=3
	s_or_b32 exec_lo, exec_lo, s45
	s_and_b32 s1, exec_lo, s44
	s_or_b32 s43, s1, s43
	s_andn2_b32 exec_lo, exec_lo, s43
	s_cbranch_execz .LBB26_17
.LBB26_14:                              ;   Parent Loop BB26_6 Depth=1
                                        ;     Parent Loop BB26_10 Depth=2
                                        ; =>    This Inner Loop Header: Depth=3
	s_or_b32 s44, s44, exec_lo
	s_mov_b32 s45, exec_lo
	v_cmpx_lt_i32_e64 v15, v30
	s_cbranch_execz .LBB26_13
; %bb.15:                               ;   in Loop: Header=BB26_14 Depth=3
	v_mov_b32_e32 v16, v6
	v_lshlrev_b64 v[31:32], 2, v[5:6]
	s_mov_b32 s1, exec_lo
	v_lshlrev_b64 v[33:34], 2, v[15:16]
	v_add_co_u32 v31, vcc_lo, v26, v31
	v_add_co_ci_u32_e64 v32, null, v27, v32, vcc_lo
	v_add_co_u32 v33, vcc_lo, v17, v33
	v_add_co_ci_u32_e64 v34, null, v18, v34, vcc_lo
	global_load_dword v21, v[31:32], off
	global_load_dword v31, v[33:34], off
	s_waitcnt vmcnt(1)
	v_subrev_nc_u32_e32 v21, s37, v21
	s_waitcnt vmcnt(0)
	v_subrev_nc_u32_e32 v31, s38, v31
	v_cmpx_eq_u32_e64 v21, v31
	s_cbranch_execz .LBB26_12
; %bb.16:                               ;   in Loop: Header=BB26_14 Depth=3
	v_lshlrev_b64 v[32:33], 3, v[5:6]
	v_lshlrev_b64 v[34:35], 3, v[15:16]
	v_add_co_u32 v32, vcc_lo, v28, v32
	v_add_co_ci_u32_e64 v33, null, v29, v33, vcc_lo
	v_add_co_u32 v34, vcc_lo, v19, v34
	v_add_co_ci_u32_e64 v35, null, v20, v35, vcc_lo
	global_load_dwordx2 v[32:33], v[32:33], off
	global_load_dwordx2 v[34:35], v[34:35], off
	s_waitcnt vmcnt(0)
	v_fma_f64 v[10:11], v[32:33], v[34:35], v[10:11]
	s_branch .LBB26_12
.LBB26_17:                              ;   in Loop: Header=BB26_10 Depth=2
	s_or_b32 exec_lo, exec_lo, s43
.LBB26_18:                              ;   in Loop: Header=BB26_10 Depth=2
	s_or_b32 exec_lo, exec_lo, s2
	v_lshlrev_b64 v[16:17], 3, v[7:8]
	v_cmp_le_i32_e64 s1, v1, v12
	s_mov_b32 s2, exec_lo
	v_add_co_u32 v16, vcc_lo, s30, v16
	v_add_co_ci_u32_e64 v17, null, s31, v17, vcc_lo
	global_load_dwordx2 v[16:17], v[16:17], off
	s_waitcnt vmcnt(0)
	v_add_f64 v[18:19], v[16:17], -v[10:11]
	v_cmpx_gt_i32_e64 v1, v12
	s_cbranch_execz .LBB26_20
; %bb.19:                               ;   in Loop: Header=BB26_10 Depth=2
	v_lshlrev_b64 v[20:21], 3, v[12:13]
	v_add_co_u32 v20, vcc_lo, s6, v20
	v_add_co_ci_u32_e64 v21, null, s7, v21, vcc_lo
	global_load_dwordx2 v[20:21], v[20:21], off
	s_waitcnt vmcnt(0)
	v_div_scale_f64 v[31:32], null, v[20:21], v[20:21], v[18:19]
	v_rcp_f64_e32 v[33:34], v[31:32]
	v_fma_f64 v[35:36], -v[31:32], v[33:34], 1.0
	v_fma_f64 v[33:34], v[33:34], v[35:36], v[33:34]
	v_fma_f64 v[35:36], -v[31:32], v[33:34], 1.0
	v_fma_f64 v[33:34], v[33:34], v[35:36], v[33:34]
	v_div_scale_f64 v[35:36], vcc_lo, v[18:19], v[20:21], v[18:19]
	v_mul_f64 v[37:38], v[35:36], v[33:34]
	v_fma_f64 v[31:32], -v[31:32], v[37:38], v[35:36]
	v_div_fmas_f64 v[31:32], v[31:32], v[33:34], v[37:38]
	v_div_fixup_f64 v[18:19], v[31:32], v[20:21], v[18:19]
.LBB26_20:                              ;   in Loop: Header=BB26_10 Depth=2
	s_or_b32 exec_lo, exec_lo, s2
	s_mov_b32 s43, exec_lo
	v_cmp_lt_i32_e32 vcc_lo, v15, v30
	v_cmpx_ge_i32_e64 v15, v30
	s_xor_b32 s43, exec_lo, s43
	s_cbranch_execnz .LBB26_24
; %bb.21:                               ;   in Loop: Header=BB26_10 Depth=2
	s_andn2_saveexec_b32 s43, s43
	s_cbranch_execnz .LBB26_33
.LBB26_22:                              ;   in Loop: Header=BB26_10 Depth=2
	s_or_b32 exec_lo, exec_lo, s43
	s_mov_b32 s43, exec_lo
	v_cmpx_eq_u32_e64 v1, v12
	s_cbranch_execnz .LBB26_40
.LBB26_23:                              ;   in Loop: Header=BB26_10 Depth=2
	s_or_b32 exec_lo, exec_lo, s43
	v_cmp_class_f64_e64 s43, v[18:19], 0x1f8
	s_and_saveexec_b32 s2, s43
	s_cbranch_execz .LBB26_9
	s_branch .LBB26_41
.LBB26_24:                              ;   in Loop: Header=BB26_10 Depth=2
	s_mov_b32 s44, exec_lo
	v_cmpx_lt_i32_e64 v5, v25
	s_cbranch_execz .LBB26_32
; %bb.25:                               ;   in Loop: Header=BB26_10 Depth=2
	v_mov_b32_e32 v8, v5
	s_mov_b32 s45, 0
                                        ; implicit-def: $sgpr46
                                        ; implicit-def: $sgpr48
                                        ; implicit-def: $sgpr47
	s_inst_prefetch 0x1
	s_branch .LBB26_27
	.p2align	6
.LBB26_26:                              ;   in Loop: Header=BB26_27 Depth=3
	s_or_b32 exec_lo, exec_lo, s49
	s_and_b32 s2, exec_lo, s48
	s_or_b32 s45, s2, s45
	s_andn2_b32 s2, s46, exec_lo
	s_and_b32 s46, s47, exec_lo
	s_or_b32 s46, s2, s46
	s_andn2_b32 exec_lo, exec_lo, s45
	s_cbranch_execz .LBB26_29
.LBB26_27:                              ;   Parent Loop BB26_6 Depth=1
                                        ;     Parent Loop BB26_10 Depth=2
                                        ; =>    This Inner Loop Header: Depth=3
	v_add_nc_u32_e32 v20, v9, v8
	s_or_b32 s47, s47, exec_lo
	s_or_b32 s48, s48, exec_lo
	s_mov_b32 s49, exec_lo
	v_ashrrev_i32_e32 v21, 31, v20
	v_lshlrev_b64 v[31:32], 2, v[20:21]
	v_add_co_u32 v31, s2, s20, v31
	v_add_co_ci_u32_e64 v32, null, s21, v32, s2
	global_load_dword v31, v[31:32], off
	s_waitcnt vmcnt(0)
	v_subrev_nc_u32_e32 v31, s37, v31
	v_cmpx_ne_u32_e64 v31, v12
	s_cbranch_execz .LBB26_26
; %bb.28:                               ;   in Loop: Header=BB26_27 Depth=3
	v_add_nc_u32_e32 v8, 1, v8
	s_andn2_b32 s48, s48, exec_lo
	s_andn2_b32 s47, s47, exec_lo
	v_cmp_ge_i32_e64 s2, v8, v25
	s_and_b32 s2, s2, exec_lo
	s_or_b32 s48, s48, s2
	s_branch .LBB26_26
.LBB26_29:                              ;   in Loop: Header=BB26_10 Depth=2
	s_inst_prefetch 0x2
	s_or_b32 exec_lo, exec_lo, s45
	s_and_saveexec_b32 s2, s46
	s_xor_b32 s45, exec_lo, s2
	s_cbranch_execz .LBB26_31
; %bb.30:                               ;   in Loop: Header=BB26_10 Depth=2
	v_lshlrev_b64 v[20:21], 3, v[20:21]
	v_lshlrev_b64 v[31:32], 3, v[12:13]
	v_add_co_u32 v20, s2, s22, v20
	v_add_co_ci_u32_e64 v21, null, s23, v21, s2
	v_add_co_u32 v31, s2, s6, v31
	v_add_co_ci_u32_e64 v32, null, s7, v32, s2
	global_load_dwordx2 v[20:21], v[20:21], off
	global_load_dwordx2 v[31:32], v[31:32], off
	s_waitcnt vmcnt(0)
	v_fma_f64 v[10:11], v[20:21], v[31:32], v[10:11]
.LBB26_31:                              ;   in Loop: Header=BB26_10 Depth=2
	s_or_b32 exec_lo, exec_lo, s45
.LBB26_32:                              ;   in Loop: Header=BB26_10 Depth=2
	s_or_b32 exec_lo, exec_lo, s44
	s_andn2_saveexec_b32 s43, s43
	s_cbranch_execz .LBB26_22
.LBB26_33:                              ;   in Loop: Header=BB26_10 Depth=2
	v_mov_b32_e32 v8, v15
	s_mov_b32 s44, 0
                                        ; implicit-def: $sgpr45
                                        ; implicit-def: $sgpr47
                                        ; implicit-def: $sgpr46
	s_inst_prefetch 0x1
	s_branch .LBB26_35
	.p2align	6
.LBB26_34:                              ;   in Loop: Header=BB26_35 Depth=3
	s_or_b32 exec_lo, exec_lo, s48
	s_and_b32 s2, exec_lo, s47
	s_or_b32 s44, s2, s44
	s_andn2_b32 s2, s45, exec_lo
	s_and_b32 s45, s46, exec_lo
	s_or_b32 s45, s2, s45
	s_andn2_b32 exec_lo, exec_lo, s44
	s_cbranch_execz .LBB26_37
.LBB26_35:                              ;   Parent Loop BB26_6 Depth=1
                                        ;     Parent Loop BB26_10 Depth=2
                                        ; =>    This Inner Loop Header: Depth=3
	v_add_nc_u32_e32 v20, v14, v8
	s_or_b32 s46, s46, exec_lo
	s_or_b32 s47, s47, exec_lo
	s_mov_b32 s48, exec_lo
	v_ashrrev_i32_e32 v21, 31, v20
	v_lshlrev_b64 v[31:32], 2, v[20:21]
	v_add_co_u32 v31, s2, s12, v31
	v_add_co_ci_u32_e64 v32, null, s13, v32, s2
	global_load_dword v31, v[31:32], off
	s_waitcnt vmcnt(0)
	v_subrev_nc_u32_e32 v31, s38, v31
	v_cmpx_ne_u32_e64 v31, v1
	s_cbranch_execz .LBB26_34
; %bb.36:                               ;   in Loop: Header=BB26_35 Depth=3
	v_add_nc_u32_e32 v8, 1, v8
	s_andn2_b32 s47, s47, exec_lo
	s_andn2_b32 s46, s46, exec_lo
	v_cmp_ge_i32_e64 s2, v8, v30
	s_and_b32 s2, s2, exec_lo
	s_or_b32 s47, s47, s2
	s_branch .LBB26_34
.LBB26_37:                              ;   in Loop: Header=BB26_10 Depth=2
	s_inst_prefetch 0x2
	s_or_b32 exec_lo, exec_lo, s44
	s_and_saveexec_b32 s2, s45
	s_xor_b32 s44, exec_lo, s2
	s_cbranch_execz .LBB26_39
; %bb.38:                               ;   in Loop: Header=BB26_10 Depth=2
	v_lshlrev_b64 v[20:21], 3, v[20:21]
	v_add_co_u32 v20, s2, s14, v20
	v_add_co_ci_u32_e64 v21, null, s15, v21, s2
	global_load_dwordx2 v[20:21], v[20:21], off
	s_waitcnt vmcnt(0)
	v_add_f64 v[10:11], v[10:11], v[20:21]
.LBB26_39:                              ;   in Loop: Header=BB26_10 Depth=2
	s_or_b32 exec_lo, exec_lo, s44
	s_or_b32 exec_lo, exec_lo, s43
	s_mov_b32 s43, exec_lo
	v_cmpx_eq_u32_e64 v1, v12
	s_cbranch_execz .LBB26_23
.LBB26_40:                              ;   in Loop: Header=BB26_10 Depth=2
	v_lshlrev_b64 v[20:21], 3, v[12:13]
	v_add_co_u32 v20, s2, s6, v20
	v_add_co_ci_u32_e64 v21, null, s7, v21, s2
	global_load_dwordx2 v[20:21], v[20:21], off
	s_waitcnt vmcnt(0)
	v_add_f64 v[10:11], v[10:11], v[20:21]
	s_or_b32 exec_lo, exec_lo, s43
	v_cmp_class_f64_e64 s43, v[18:19], 0x1f8
	s_and_saveexec_b32 s2, s43
	s_cbranch_execz .LBB26_9
.LBB26_41:                              ;   in Loop: Header=BB26_10 Depth=2
	s_and_saveexec_b32 s43, s1
	s_xor_b32 s43, exec_lo, s43
	s_cbranch_execz .LBB26_54
; %bb.42:                               ;   in Loop: Header=BB26_10 Depth=2
	s_mov_b32 s44, exec_lo
	v_cmpx_ge_i32_e64 v1, v12
	s_xor_b32 s44, exec_lo, s44
	s_cbranch_execz .LBB26_44
; %bb.43:                               ;   in Loop: Header=BB26_10 Depth=2
	v_lshlrev_b64 v[12:13], 3, v[12:13]
                                        ; implicit-def: $vgpr15
                                        ; implicit-def: $vgpr14
                                        ; implicit-def: $vgpr30
	v_add_co_u32 v12, s1, s6, v12
	v_add_co_ci_u32_e64 v13, null, s7, v13, s1
	global_store_dwordx2 v[12:13], v[18:19], off
                                        ; implicit-def: $vgpr18_vgpr19
.LBB26_44:                              ;   in Loop: Header=BB26_10 Depth=2
	s_andn2_saveexec_b32 s1, s44
	s_cbranch_execz .LBB26_53
; %bb.45:                               ;   in Loop: Header=BB26_10 Depth=2
	s_and_saveexec_b32 s44, vcc_lo
	s_cbranch_execz .LBB26_52
; %bb.46:                               ;   in Loop: Header=BB26_10 Depth=2
	s_mov_b32 s45, 0
                                        ; implicit-def: $sgpr46
                                        ; implicit-def: $sgpr48
                                        ; implicit-def: $sgpr47
	s_inst_prefetch 0x1
	s_branch .LBB26_48
	.p2align	6
.LBB26_47:                              ;   in Loop: Header=BB26_48 Depth=3
	s_or_b32 exec_lo, exec_lo, s49
	s_and_b32 s49, exec_lo, s48
	s_or_b32 s45, s49, s45
	s_andn2_b32 s46, s46, exec_lo
	s_and_b32 s49, s47, exec_lo
	s_or_b32 s46, s46, s49
	s_andn2_b32 exec_lo, exec_lo, s45
	s_cbranch_execz .LBB26_50
.LBB26_48:                              ;   Parent Loop BB26_6 Depth=1
                                        ;     Parent Loop BB26_10 Depth=2
                                        ; =>    This Inner Loop Header: Depth=3
	v_add_nc_u32_e32 v12, v14, v15
	s_or_b32 s47, s47, exec_lo
	s_or_b32 s48, s48, exec_lo
	s_mov_b32 s49, exec_lo
	v_ashrrev_i32_e32 v13, 31, v12
	v_lshlrev_b64 v[20:21], 2, v[12:13]
	v_add_co_u32 v20, vcc_lo, s12, v20
	v_add_co_ci_u32_e64 v21, null, s13, v21, vcc_lo
	global_load_dword v5, v[20:21], off
	s_waitcnt vmcnt(0)
	v_subrev_nc_u32_e32 v5, s38, v5
	v_cmpx_ne_u32_e64 v5, v1
	s_cbranch_execz .LBB26_47
; %bb.49:                               ;   in Loop: Header=BB26_48 Depth=3
	v_add_nc_u32_e32 v15, 1, v15
	s_andn2_b32 s48, s48, exec_lo
	s_andn2_b32 s47, s47, exec_lo
	v_cmp_ge_i32_e32 vcc_lo, v15, v30
	s_and_b32 s50, vcc_lo, exec_lo
	s_or_b32 s48, s48, s50
	s_branch .LBB26_47
.LBB26_50:                              ;   in Loop: Header=BB26_10 Depth=2
	s_inst_prefetch 0x2
	s_or_b32 exec_lo, exec_lo, s45
	s_and_saveexec_b32 s45, s46
	s_xor_b32 s45, exec_lo, s45
	s_cbranch_execz .LBB26_52
; %bb.51:                               ;   in Loop: Header=BB26_10 Depth=2
	v_lshlrev_b64 v[12:13], 3, v[12:13]
	v_add_co_u32 v12, vcc_lo, s14, v12
	v_add_co_ci_u32_e64 v13, null, s15, v13, vcc_lo
	global_store_dwordx2 v[12:13], v[18:19], off
.LBB26_52:                              ;   in Loop: Header=BB26_10 Depth=2
	s_or_b32 exec_lo, exec_lo, s44
.LBB26_53:                              ;   in Loop: Header=BB26_10 Depth=2
	s_or_b32 exec_lo, exec_lo, s1
                                        ; implicit-def: $vgpr18_vgpr19
                                        ; implicit-def: $vgpr12_vgpr13
.LBB26_54:                              ;   in Loop: Header=BB26_10 Depth=2
	s_andn2_saveexec_b32 s1, s43
	s_cbranch_execz .LBB26_9
; %bb.55:                               ;   in Loop: Header=BB26_10 Depth=2
	v_cmp_lt_i32_e32 vcc_lo, v5, v25
	s_and_b32 exec_lo, exec_lo, vcc_lo
	s_cbranch_execz .LBB26_9
; %bb.56:                               ;   in Loop: Header=BB26_10 Depth=2
	s_mov_b32 s1, 0
                                        ; implicit-def: $sgpr43
                                        ; implicit-def: $sgpr45
                                        ; implicit-def: $sgpr44
	s_inst_prefetch 0x1
	s_branch .LBB26_58
	.p2align	6
.LBB26_57:                              ;   in Loop: Header=BB26_58 Depth=3
	s_or_b32 exec_lo, exec_lo, s46
	s_and_b32 s46, exec_lo, s45
	s_or_b32 s1, s46, s1
	s_andn2_b32 s43, s43, exec_lo
	s_and_b32 s46, s44, exec_lo
	s_or_b32 s43, s43, s46
	s_andn2_b32 exec_lo, exec_lo, s1
	s_cbranch_execz .LBB26_60
.LBB26_58:                              ;   Parent Loop BB26_6 Depth=1
                                        ;     Parent Loop BB26_10 Depth=2
                                        ; =>    This Inner Loop Header: Depth=3
	v_add_nc_u32_e32 v13, v9, v5
	s_or_b32 s44, s44, exec_lo
	s_or_b32 s45, s45, exec_lo
	s_mov_b32 s46, exec_lo
	v_ashrrev_i32_e32 v14, 31, v13
	v_lshlrev_b64 v[20:21], 2, v[13:14]
	v_add_co_u32 v20, vcc_lo, s20, v20
	v_add_co_ci_u32_e64 v21, null, s21, v21, vcc_lo
	global_load_dword v8, v[20:21], off
	s_waitcnt vmcnt(0)
	v_subrev_nc_u32_e32 v8, s37, v8
	v_cmpx_ne_u32_e64 v8, v12
	s_cbranch_execz .LBB26_57
; %bb.59:                               ;   in Loop: Header=BB26_58 Depth=3
	v_add_nc_u32_e32 v5, 1, v5
	s_andn2_b32 s45, s45, exec_lo
	s_andn2_b32 s44, s44, exec_lo
	v_cmp_ge_i32_e32 vcc_lo, v5, v25
	s_and_b32 s47, vcc_lo, exec_lo
	s_or_b32 s45, s45, s47
	s_branch .LBB26_57
.LBB26_60:                              ;   in Loop: Header=BB26_10 Depth=2
	s_inst_prefetch 0x2
	s_or_b32 exec_lo, exec_lo, s1
	s_and_saveexec_b32 s1, s43
	s_xor_b32 s1, exec_lo, s1
	s_cbranch_execz .LBB26_9
; %bb.61:                               ;   in Loop: Header=BB26_10 Depth=2
	v_lshlrev_b64 v[12:13], 3, v[13:14]
	v_add_co_u32 v12, vcc_lo, s22, v12
	v_add_co_ci_u32_e64 v13, null, s23, v13, vcc_lo
	global_store_dwordx2 v[12:13], v[18:19], off
	s_branch .LBB26_9
.LBB26_62:
	s_or_b32 exec_lo, exec_lo, s39
.LBB26_63:
	s_or_b32 exec_lo, exec_lo, s34
.LBB26_64:
	s_or_b32 exec_lo, exec_lo, s3
	v_mbcnt_lo_u32_b32 v5, -1, 0
	v_xor_b32_e32 v1, 16, v5
	v_xor_b32_e32 v6, 8, v5
	v_cmp_gt_i32_e32 vcc_lo, 32, v1
	v_cmp_gt_i32_e64 s0, 32, v6
	v_cndmask_b32_e32 v1, v5, v1, vcc_lo
	v_cndmask_b32_e64 v6, v5, v6, s0
	v_lshlrev_b32_e32 v2, 2, v1
	v_lshlrev_b32_e32 v6, 2, v6
	ds_bpermute_b32 v1, v2, v3
	ds_bpermute_b32 v2, v2, v4
	s_waitcnt lgkmcnt(0)
	v_cmp_lt_f64_e32 vcc_lo, v[3:4], v[1:2]
	v_cndmask_b32_e32 v2, v4, v2, vcc_lo
	v_cndmask_b32_e32 v1, v3, v1, vcc_lo
	ds_bpermute_b32 v4, v6, v2
	ds_bpermute_b32 v3, v6, v1
	v_xor_b32_e32 v6, 4, v5
	v_cmp_gt_i32_e64 s0, 32, v6
	v_cndmask_b32_e64 v6, v5, v6, s0
	v_lshlrev_b32_e32 v6, 2, v6
	s_waitcnt lgkmcnt(0)
	v_cmp_lt_f64_e32 vcc_lo, v[1:2], v[3:4]
	v_cndmask_b32_e32 v2, v2, v4, vcc_lo
	v_cndmask_b32_e32 v1, v1, v3, vcc_lo
	ds_bpermute_b32 v4, v6, v2
	ds_bpermute_b32 v3, v6, v1
	v_xor_b32_e32 v6, 2, v5
	v_cmp_gt_i32_e64 s0, 32, v6
	v_cndmask_b32_e64 v6, v5, v6, s0
	v_lshlrev_b32_e32 v6, 2, v6
	s_waitcnt lgkmcnt(0)
	v_cmp_lt_f64_e32 vcc_lo, v[1:2], v[3:4]
	v_cndmask_b32_e32 v2, v2, v4, vcc_lo
	v_cndmask_b32_e32 v1, v1, v3, vcc_lo
	ds_bpermute_b32 v4, v6, v2
	ds_bpermute_b32 v3, v6, v1
	v_xor_b32_e32 v6, 1, v5
	v_cmp_gt_i32_e64 s0, 32, v6
	v_cndmask_b32_e64 v5, v5, v6, s0
	s_mov_b32 s0, exec_lo
	v_lshlrev_b32_e32 v5, 2, v5
	s_waitcnt lgkmcnt(0)
	v_cmp_lt_f64_e32 vcc_lo, v[1:2], v[3:4]
	v_cndmask_b32_e32 v2, v2, v4, vcc_lo
	v_cndmask_b32_e32 v1, v1, v3, vcc_lo
	ds_bpermute_b32 v3, v5, v1
	ds_bpermute_b32 v5, v5, v2
	v_cmpx_eq_u32_e32 31, v23
	s_cbranch_execz .LBB26_66
; %bb.65:
	s_waitcnt lgkmcnt(0)
	v_mov_b32_e32 v4, v5
	v_cmp_lt_f64_e32 vcc_lo, v[1:2], v[3:4]
	v_lshlrev_b32_e32 v4, 3, v22
	v_cndmask_b32_e32 v2, v2, v5, vcc_lo
	v_cndmask_b32_e32 v1, v1, v3, vcc_lo
	ds_write_b64 v4, v[1:2]
.LBB26_66:
	s_or_b32 exec_lo, exec_lo, s0
	v_lshlrev_b32_e32 v1, 3, v0
	s_mov_b32 s0, exec_lo
	s_waitcnt lgkmcnt(0)
	s_waitcnt_vscnt null, 0x0
	s_barrier
	buffer_gl0_inv
	v_cmpx_gt_u32_e32 16, v0
	s_cbranch_execz .LBB26_68
; %bb.67:
	ds_read2_b64 v[2:5], v1 offset1:16
	s_waitcnt lgkmcnt(0)
	v_cmp_lt_f64_e32 vcc_lo, v[2:3], v[4:5]
	v_cndmask_b32_e32 v3, v3, v5, vcc_lo
	v_cndmask_b32_e32 v2, v2, v4, vcc_lo
	ds_write_b64 v1, v[2:3]
.LBB26_68:
	s_or_b32 exec_lo, exec_lo, s0
	s_mov_b32 s0, exec_lo
	s_waitcnt lgkmcnt(0)
	s_barrier
	buffer_gl0_inv
	v_cmpx_gt_u32_e32 8, v0
	s_cbranch_execz .LBB26_70
; %bb.69:
	ds_read2_b64 v[2:5], v1 offset1:8
	s_waitcnt lgkmcnt(0)
	v_cmp_lt_f64_e32 vcc_lo, v[2:3], v[4:5]
	v_cndmask_b32_e32 v3, v3, v5, vcc_lo
	v_cndmask_b32_e32 v2, v2, v4, vcc_lo
	ds_write_b64 v1, v[2:3]
.LBB26_70:
	s_or_b32 exec_lo, exec_lo, s0
	s_mov_b32 s0, exec_lo
	s_waitcnt lgkmcnt(0)
	;; [unrolled: 15-line block ×3, first 2 shown]
	s_barrier
	buffer_gl0_inv
	v_cmpx_gt_u32_e32 2, v0
	s_cbranch_execz .LBB26_74
; %bb.73:
	ds_read2_b64 v[2:5], v1 offset1:2
	s_waitcnt lgkmcnt(0)
	v_cmp_lt_f64_e32 vcc_lo, v[2:3], v[4:5]
	v_cndmask_b32_e32 v3, v3, v5, vcc_lo
	v_cndmask_b32_e32 v2, v2, v4, vcc_lo
	ds_write_b64 v1, v[2:3]
.LBB26_74:
	s_or_b32 exec_lo, exec_lo, s0
	v_cmp_eq_u32_e32 vcc_lo, 0, v0
	s_waitcnt lgkmcnt(0)
	s_barrier
	buffer_gl0_inv
	s_and_saveexec_b32 s1, vcc_lo
	s_cbranch_execz .LBB26_76
; %bb.75:
	v_mov_b32_e32 v4, 0
	ds_read_b128 v[0:3], v4
	s_waitcnt lgkmcnt(0)
	v_cmp_lt_f64_e64 s0, v[0:1], v[2:3]
	v_cndmask_b32_e64 v1, v1, v3, s0
	v_cndmask_b32_e64 v0, v0, v2, s0
	ds_write_b64 v4, v[0:1]
.LBB26_76:
	s_or_b32 exec_lo, exec_lo, s1
	s_waitcnt lgkmcnt(0)
	s_barrier
	buffer_gl0_inv
	s_and_saveexec_b32 s0, vcc_lo
	s_cbranch_execz .LBB26_80
; %bb.77:
	v_mbcnt_lo_u32_b32 v0, exec_lo, 0
	s_mov_b32 s6, 0
	v_cmp_eq_u32_e32 vcc_lo, 0, v0
	s_and_b32 exec_lo, exec_lo, vcc_lo
	s_cbranch_execz .LBB26_80
; %bb.78:
	s_load_dwordx4 s[0:3], s[4:5], 0x88
	v_mov_b32_e32 v6, 0
	ds_read_b64 v[0:1], v6
	s_waitcnt lgkmcnt(0)
	s_load_dwordx2 s[2:3], s[2:3], 0x0
	s_waitcnt lgkmcnt(0)
	v_div_scale_f64 v[2:3], null, s[2:3], s[2:3], v[0:1]
	v_rcp_f64_e32 v[4:5], v[2:3]
	v_fma_f64 v[7:8], -v[2:3], v[4:5], 1.0
	v_fma_f64 v[4:5], v[4:5], v[7:8], v[4:5]
	v_fma_f64 v[7:8], -v[2:3], v[4:5], 1.0
	v_fma_f64 v[4:5], v[4:5], v[7:8], v[4:5]
	v_div_scale_f64 v[7:8], vcc_lo, v[0:1], s[2:3], v[0:1]
	v_mul_f64 v[9:10], v[7:8], v[4:5]
	v_fma_f64 v[2:3], -v[2:3], v[9:10], v[7:8]
	v_div_fmas_f64 v[2:3], v[2:3], v[4:5], v[9:10]
	v_div_fixup_f64 v[0:1], v[2:3], s[2:3], v[0:1]
	s_load_dwordx2 s[2:3], s[0:1], 0x0
	s_waitcnt lgkmcnt(0)
	v_mov_b32_e32 v2, s2
	v_max_f64 v[4:5], v[0:1], v[0:1]
	v_mov_b32_e32 v3, s3
.LBB26_79:                              ; =>This Inner Loop Header: Depth=1
	v_max_f64 v[0:1], v[2:3], v[2:3]
	v_max_f64 v[0:1], v[0:1], v[4:5]
	global_atomic_cmpswap_x2 v[0:1], v6, v[0:3], s[0:1] glc
	s_waitcnt vmcnt(0)
	v_cmp_eq_u64_e32 vcc_lo, v[0:1], v[2:3]
	v_mov_b32_e32 v3, v1
	v_mov_b32_e32 v2, v0
	s_or_b32 s6, vcc_lo, s6
	s_andn2_b32 exec_lo, exec_lo, s6
	s_cbranch_execnz .LBB26_79
.LBB26_80:
	s_endpgm
	.section	.rodata,"a",@progbits
	.p2align	6, 0x0
	.amdhsa_kernel _ZN9rocsparseL17kernel_correctionILi1024ELi32EdiiEEvT3_T2_PKS2_S4_PKS1_PKT1_21rocsparse_index_base_S4_S4_S6_PS7_SA_S4_S4_S6_SB_SA_SB_PNS_15floating_traitsIS7_E6data_tEPKSE_
		.amdhsa_group_segment_fixed_size 256
		.amdhsa_private_segment_fixed_size 0
		.amdhsa_kernarg_size 152
		.amdhsa_user_sgpr_count 6
		.amdhsa_user_sgpr_private_segment_buffer 1
		.amdhsa_user_sgpr_dispatch_ptr 0
		.amdhsa_user_sgpr_queue_ptr 0
		.amdhsa_user_sgpr_kernarg_segment_ptr 1
		.amdhsa_user_sgpr_dispatch_id 0
		.amdhsa_user_sgpr_flat_scratch_init 0
		.amdhsa_user_sgpr_private_segment_size 0
		.amdhsa_wavefront_size32 1
		.amdhsa_uses_dynamic_stack 0
		.amdhsa_system_sgpr_private_segment_wavefront_offset 0
		.amdhsa_system_sgpr_workgroup_id_x 1
		.amdhsa_system_sgpr_workgroup_id_y 0
		.amdhsa_system_sgpr_workgroup_id_z 0
		.amdhsa_system_sgpr_workgroup_info 0
		.amdhsa_system_vgpr_workitem_id 0
		.amdhsa_next_free_vgpr 39
		.amdhsa_next_free_sgpr 51
		.amdhsa_reserve_vcc 1
		.amdhsa_reserve_flat_scratch 0
		.amdhsa_float_round_mode_32 0
		.amdhsa_float_round_mode_16_64 0
		.amdhsa_float_denorm_mode_32 3
		.amdhsa_float_denorm_mode_16_64 3
		.amdhsa_dx10_clamp 1
		.amdhsa_ieee_mode 1
		.amdhsa_fp16_overflow 0
		.amdhsa_workgroup_processor_mode 1
		.amdhsa_memory_ordered 1
		.amdhsa_forward_progress 1
		.amdhsa_shared_vgpr_count 0
		.amdhsa_exception_fp_ieee_invalid_op 0
		.amdhsa_exception_fp_denorm_src 0
		.amdhsa_exception_fp_ieee_div_zero 0
		.amdhsa_exception_fp_ieee_overflow 0
		.amdhsa_exception_fp_ieee_underflow 0
		.amdhsa_exception_fp_ieee_inexact 0
		.amdhsa_exception_int_div_zero 0
	.end_amdhsa_kernel
	.section	.text._ZN9rocsparseL17kernel_correctionILi1024ELi32EdiiEEvT3_T2_PKS2_S4_PKS1_PKT1_21rocsparse_index_base_S4_S4_S6_PS7_SA_S4_S4_S6_SB_SA_SB_PNS_15floating_traitsIS7_E6data_tEPKSE_,"axG",@progbits,_ZN9rocsparseL17kernel_correctionILi1024ELi32EdiiEEvT3_T2_PKS2_S4_PKS1_PKT1_21rocsparse_index_base_S4_S4_S6_PS7_SA_S4_S4_S6_SB_SA_SB_PNS_15floating_traitsIS7_E6data_tEPKSE_,comdat
.Lfunc_end26:
	.size	_ZN9rocsparseL17kernel_correctionILi1024ELi32EdiiEEvT3_T2_PKS2_S4_PKS1_PKT1_21rocsparse_index_base_S4_S4_S6_PS7_SA_S4_S4_S6_SB_SA_SB_PNS_15floating_traitsIS7_E6data_tEPKSE_, .Lfunc_end26-_ZN9rocsparseL17kernel_correctionILi1024ELi32EdiiEEvT3_T2_PKS2_S4_PKS1_PKT1_21rocsparse_index_base_S4_S4_S6_PS7_SA_S4_S4_S6_SB_SA_SB_PNS_15floating_traitsIS7_E6data_tEPKSE_
                                        ; -- End function
	.set _ZN9rocsparseL17kernel_correctionILi1024ELi32EdiiEEvT3_T2_PKS2_S4_PKS1_PKT1_21rocsparse_index_base_S4_S4_S6_PS7_SA_S4_S4_S6_SB_SA_SB_PNS_15floating_traitsIS7_E6data_tEPKSE_.num_vgpr, 39
	.set _ZN9rocsparseL17kernel_correctionILi1024ELi32EdiiEEvT3_T2_PKS2_S4_PKS1_PKT1_21rocsparse_index_base_S4_S4_S6_PS7_SA_S4_S4_S6_SB_SA_SB_PNS_15floating_traitsIS7_E6data_tEPKSE_.num_agpr, 0
	.set _ZN9rocsparseL17kernel_correctionILi1024ELi32EdiiEEvT3_T2_PKS2_S4_PKS1_PKT1_21rocsparse_index_base_S4_S4_S6_PS7_SA_S4_S4_S6_SB_SA_SB_PNS_15floating_traitsIS7_E6data_tEPKSE_.numbered_sgpr, 51
	.set _ZN9rocsparseL17kernel_correctionILi1024ELi32EdiiEEvT3_T2_PKS2_S4_PKS1_PKT1_21rocsparse_index_base_S4_S4_S6_PS7_SA_S4_S4_S6_SB_SA_SB_PNS_15floating_traitsIS7_E6data_tEPKSE_.num_named_barrier, 0
	.set _ZN9rocsparseL17kernel_correctionILi1024ELi32EdiiEEvT3_T2_PKS2_S4_PKS1_PKT1_21rocsparse_index_base_S4_S4_S6_PS7_SA_S4_S4_S6_SB_SA_SB_PNS_15floating_traitsIS7_E6data_tEPKSE_.private_seg_size, 0
	.set _ZN9rocsparseL17kernel_correctionILi1024ELi32EdiiEEvT3_T2_PKS2_S4_PKS1_PKT1_21rocsparse_index_base_S4_S4_S6_PS7_SA_S4_S4_S6_SB_SA_SB_PNS_15floating_traitsIS7_E6data_tEPKSE_.uses_vcc, 1
	.set _ZN9rocsparseL17kernel_correctionILi1024ELi32EdiiEEvT3_T2_PKS2_S4_PKS1_PKT1_21rocsparse_index_base_S4_S4_S6_PS7_SA_S4_S4_S6_SB_SA_SB_PNS_15floating_traitsIS7_E6data_tEPKSE_.uses_flat_scratch, 0
	.set _ZN9rocsparseL17kernel_correctionILi1024ELi32EdiiEEvT3_T2_PKS2_S4_PKS1_PKT1_21rocsparse_index_base_S4_S4_S6_PS7_SA_S4_S4_S6_SB_SA_SB_PNS_15floating_traitsIS7_E6data_tEPKSE_.has_dyn_sized_stack, 0
	.set _ZN9rocsparseL17kernel_correctionILi1024ELi32EdiiEEvT3_T2_PKS2_S4_PKS1_PKT1_21rocsparse_index_base_S4_S4_S6_PS7_SA_S4_S4_S6_SB_SA_SB_PNS_15floating_traitsIS7_E6data_tEPKSE_.has_recursion, 0
	.set _ZN9rocsparseL17kernel_correctionILi1024ELi32EdiiEEvT3_T2_PKS2_S4_PKS1_PKT1_21rocsparse_index_base_S4_S4_S6_PS7_SA_S4_S4_S6_SB_SA_SB_PNS_15floating_traitsIS7_E6data_tEPKSE_.has_indirect_call, 0
	.section	.AMDGPU.csdata,"",@progbits
; Kernel info:
; codeLenInByte = 3412
; TotalNumSgprs: 53
; NumVgprs: 39
; ScratchSize: 0
; MemoryBound: 1
; FloatMode: 240
; IeeeMode: 1
; LDSByteSize: 256 bytes/workgroup (compile time only)
; SGPRBlocks: 0
; VGPRBlocks: 4
; NumSGPRsForWavesPerEU: 53
; NumVGPRsForWavesPerEU: 39
; Occupancy: 16
; WaveLimiterHint : 1
; COMPUTE_PGM_RSRC2:SCRATCH_EN: 0
; COMPUTE_PGM_RSRC2:USER_SGPR: 6
; COMPUTE_PGM_RSRC2:TRAP_HANDLER: 0
; COMPUTE_PGM_RSRC2:TGID_X_EN: 1
; COMPUTE_PGM_RSRC2:TGID_Y_EN: 0
; COMPUTE_PGM_RSRC2:TGID_Z_EN: 0
; COMPUTE_PGM_RSRC2:TIDIG_COMP_CNT: 0
	.section	.text._ZN9rocsparseL17kernel_correctionILi1024ELi64EdiiEEvT3_T2_PKS2_S4_PKS1_PKT1_21rocsparse_index_base_S4_S4_S6_PS7_SA_S4_S4_S6_SB_SA_SB_PNS_15floating_traitsIS7_E6data_tEPKSE_,"axG",@progbits,_ZN9rocsparseL17kernel_correctionILi1024ELi64EdiiEEvT3_T2_PKS2_S4_PKS1_PKT1_21rocsparse_index_base_S4_S4_S6_PS7_SA_S4_S4_S6_SB_SA_SB_PNS_15floating_traitsIS7_E6data_tEPKSE_,comdat
	.globl	_ZN9rocsparseL17kernel_correctionILi1024ELi64EdiiEEvT3_T2_PKS2_S4_PKS1_PKT1_21rocsparse_index_base_S4_S4_S6_PS7_SA_S4_S4_S6_SB_SA_SB_PNS_15floating_traitsIS7_E6data_tEPKSE_ ; -- Begin function _ZN9rocsparseL17kernel_correctionILi1024ELi64EdiiEEvT3_T2_PKS2_S4_PKS1_PKT1_21rocsparse_index_base_S4_S4_S6_PS7_SA_S4_S4_S6_SB_SA_SB_PNS_15floating_traitsIS7_E6data_tEPKSE_
	.p2align	8
	.type	_ZN9rocsparseL17kernel_correctionILi1024ELi64EdiiEEvT3_T2_PKS2_S4_PKS1_PKT1_21rocsparse_index_base_S4_S4_S6_PS7_SA_S4_S4_S6_SB_SA_SB_PNS_15floating_traitsIS7_E6data_tEPKSE_,@function
_ZN9rocsparseL17kernel_correctionILi1024ELi64EdiiEEvT3_T2_PKS2_S4_PKS1_PKT1_21rocsparse_index_base_S4_S4_S6_PS7_SA_S4_S4_S6_SB_SA_SB_PNS_15floating_traitsIS7_E6data_tEPKSE_: ; @_ZN9rocsparseL17kernel_correctionILi1024ELi64EdiiEEvT3_T2_PKS2_S4_PKS1_PKT1_21rocsparse_index_base_S4_S4_S6_PS7_SA_S4_S4_S6_SB_SA_SB_PNS_15floating_traitsIS7_E6data_tEPKSE_
; %bb.0:
	s_load_dword s33, s[4:5], 0x0
	v_lshrrev_b32_e32 v22, 6, v0
	s_lshl_b32 s35, s6, 10
	v_mov_b32_e32 v3, 0
	v_and_b32_e32 v23, 63, v0
	v_mov_b32_e32 v4, 0
	v_or_b32_e32 v1, s35, v22
	s_mov_b32 s3, exec_lo
	s_waitcnt lgkmcnt(0)
	v_cmpx_gt_i32_e64 s33, v1
	s_cbranch_execz .LBB27_64
; %bb.1:
	v_mov_b32_e32 v3, 0
	v_mov_b32_e32 v4, 0
	s_addk_i32 s35, 0x400
	s_mov_b32 s34, exec_lo
	v_cmpx_gt_u32_e64 s35, v1
	s_cbranch_execz .LBB27_63
; %bb.2:
	s_clause 0x6
	s_load_dword s36, s[4:5], 0x28
	s_load_dwordx8 s[8:15], s[4:5], 0x58
	s_load_dwordx8 s[16:23], s[4:5], 0x30
	;; [unrolled: 1-line block ×3, first 2 shown]
	s_load_dword s37, s[4:5], 0x50
	s_load_dwordx2 s[6:7], s[4:5], 0x80
	s_load_dword s38, s[4:5], 0x78
	v_mov_b32_e32 v3, 0
	v_mov_b32_e32 v4, 0
	;; [unrolled: 1-line block ×3, first 2 shown]
	s_mov_b32 s39, 0
	s_waitcnt lgkmcnt(0)
	v_subrev_nc_u32_e32 v24, s36, v23
	s_branch .LBB27_6
.LBB27_3:                               ;   in Loop: Header=BB27_6 Depth=1
	s_or_b32 exec_lo, exec_lo, s42
.LBB27_4:                               ;   in Loop: Header=BB27_6 Depth=1
	s_or_b32 exec_lo, exec_lo, s41
.LBB27_5:                               ;   in Loop: Header=BB27_6 Depth=1
	s_or_b32 exec_lo, exec_lo, s40
	v_add_nc_u32_e32 v1, 16, v1
	v_cmp_le_u32_e32 vcc_lo, s35, v1
	s_or_b32 s39, vcc_lo, s39
	s_andn2_b32 exec_lo, exec_lo, s39
	s_cbranch_execz .LBB27_62
.LBB27_6:                               ; =>This Loop Header: Depth=1
                                        ;     Child Loop BB27_10 Depth 2
                                        ;       Child Loop BB27_14 Depth 3
                                        ;       Child Loop BB27_27 Depth 3
	;; [unrolled: 1-line block ×5, first 2 shown]
	s_mov_b32 s40, exec_lo
	v_cmpx_gt_i32_e64 s33, v1
	s_cbranch_execz .LBB27_5
; %bb.7:                                ;   in Loop: Header=BB27_6 Depth=1
	v_ashrrev_i32_e32 v2, 31, v1
	s_mov_b32 s41, exec_lo
	v_lshlrev_b64 v[8:9], 2, v[1:2]
	v_add_co_u32 v10, vcc_lo, s24, v8
	v_add_co_ci_u32_e64 v11, null, s25, v9, vcc_lo
	v_add_co_u32 v12, vcc_lo, s26, v8
	v_add_co_ci_u32_e64 v13, null, s27, v9, vcc_lo
	global_load_dword v2, v[10:11], off
	global_load_dword v5, v[12:13], off
	s_waitcnt vmcnt(1)
	v_add_nc_u32_e32 v7, v24, v2
	s_waitcnt vmcnt(0)
	v_subrev_nc_u32_e32 v2, s36, v5
	v_cmpx_lt_i32_e64 v7, v2
	s_cbranch_execz .LBB27_4
; %bb.8:                                ;   in Loop: Header=BB27_6 Depth=1
	v_add_co_u32 v10, vcc_lo, s16, v8
	v_add_co_ci_u32_e64 v11, null, s17, v9, vcc_lo
	v_add_co_u32 v8, vcc_lo, s18, v8
	v_add_co_ci_u32_e64 v9, null, s19, v9, vcc_lo
	global_load_dword v5, v[10:11], off
	s_mov_b32 s42, 0
	global_load_dword v8, v[8:9], off
	s_waitcnt vmcnt(1)
	v_subrev_nc_u32_e32 v9, s37, v5
	s_waitcnt vmcnt(0)
	v_sub_nc_u32_e32 v25, v8, v5
	v_ashrrev_i32_e32 v10, 31, v9
	v_cmp_lt_i32_e64 s0, 0, v25
	v_lshlrev_b64 v[11:12], 2, v[9:10]
	v_lshlrev_b64 v[13:14], 3, v[9:10]
	v_add_co_u32 v26, vcc_lo, s20, v11
	v_add_co_ci_u32_e64 v27, null, s21, v12, vcc_lo
	v_add_co_u32 v28, vcc_lo, s22, v13
	v_add_co_ci_u32_e64 v29, null, s23, v14, vcc_lo
	s_branch .LBB27_10
.LBB27_9:                               ;   in Loop: Header=BB27_10 Depth=2
	s_or_b32 exec_lo, exec_lo, s2
	v_add_f64 v[10:11], v[16:17], -v[10:11]
	v_add_nc_u32_e32 v7, 64, v7
	v_cmp_ge_i32_e32 vcc_lo, v7, v2
	v_cmp_nlg_f64_e64 s1, 0x7ff00000, |v[10:11]|
	v_cmp_gt_f64_e64 s2, v[3:4], |v[10:11]|
	v_and_b32_e32 v5, 0x7fffffff, v11
	s_or_b32 s1, s1, s2
	s_or_b32 s42, vcc_lo, s42
	v_cndmask_b32_e64 v4, v5, v4, s1
	v_cndmask_b32_e64 v3, v10, v3, s1
	s_andn2_b32 exec_lo, exec_lo, s42
	s_cbranch_execz .LBB27_3
.LBB27_10:                              ;   Parent Loop BB27_6 Depth=1
                                        ; =>  This Loop Header: Depth=2
                                        ;       Child Loop BB27_14 Depth 3
                                        ;       Child Loop BB27_27 Depth 3
                                        ;       Child Loop BB27_35 Depth 3
                                        ;       Child Loop BB27_48 Depth 3
                                        ;       Child Loop BB27_58 Depth 3
	v_ashrrev_i32_e32 v8, 31, v7
	v_lshlrev_b64 v[10:11], 2, v[7:8]
	v_add_co_u32 v10, vcc_lo, s28, v10
	v_add_co_ci_u32_e64 v11, null, s29, v11, vcc_lo
	global_load_dword v5, v[10:11], off
	s_waitcnt vmcnt(0)
	v_subrev_nc_u32_e32 v12, s36, v5
	v_ashrrev_i32_e32 v13, 31, v12
	v_lshlrev_b64 v[10:11], 2, v[12:13]
	v_add_co_u32 v14, vcc_lo, s8, v10
	v_add_co_ci_u32_e64 v15, null, s9, v11, vcc_lo
	v_add_co_u32 v10, vcc_lo, s10, v10
	v_add_co_ci_u32_e64 v11, null, s11, v11, vcc_lo
	global_load_dword v5, v[14:15], off
	global_load_dword v16, v[10:11], off
	v_mov_b32_e32 v15, 0
	v_mov_b32_e32 v10, 0
	;; [unrolled: 1-line block ×3, first 2 shown]
	s_waitcnt vmcnt(1)
	v_subrev_nc_u32_e32 v14, s38, v5
	s_waitcnt vmcnt(0)
	v_sub_nc_u32_e32 v30, v16, v5
	v_mov_b32_e32 v5, v15
	s_and_saveexec_b32 s2, s0
	s_cbranch_execz .LBB27_18
; %bb.11:                               ;   in Loop: Header=BB27_10 Depth=2
	v_ashrrev_i32_e32 v15, 31, v14
	v_mov_b32_e32 v10, 0
	v_mov_b32_e32 v11, 0
	;; [unrolled: 1-line block ×3, first 2 shown]
	s_mov_b32 s43, 0
	v_lshlrev_b64 v[17:18], 2, v[14:15]
	v_lshlrev_b64 v[15:16], 3, v[14:15]
                                        ; implicit-def: $sgpr44
	v_add_co_u32 v17, vcc_lo, s12, v17
	v_add_co_ci_u32_e64 v18, null, s13, v18, vcc_lo
	v_add_co_u32 v19, vcc_lo, s14, v15
	v_add_co_ci_u32_e64 v20, null, s15, v16, vcc_lo
	v_mov_b32_e32 v15, 0
	s_branch .LBB27_14
.LBB27_12:                              ;   in Loop: Header=BB27_14 Depth=3
	s_or_b32 exec_lo, exec_lo, s1
	v_cmp_le_i32_e32 vcc_lo, v21, v31
	v_cmp_ge_i32_e64 s1, v21, v31
	v_add_co_ci_u32_e64 v5, null, 0, v5, vcc_lo
	v_add_co_ci_u32_e64 v15, null, 0, v15, s1
	s_andn2_b32 s1, s44, exec_lo
	v_cmp_ge_i32_e32 vcc_lo, v5, v25
	s_and_b32 s44, vcc_lo, exec_lo
	s_or_b32 s44, s1, s44
.LBB27_13:                              ;   in Loop: Header=BB27_14 Depth=3
	s_or_b32 exec_lo, exec_lo, s45
	s_and_b32 s1, exec_lo, s44
	s_or_b32 s43, s1, s43
	s_andn2_b32 exec_lo, exec_lo, s43
	s_cbranch_execz .LBB27_17
.LBB27_14:                              ;   Parent Loop BB27_6 Depth=1
                                        ;     Parent Loop BB27_10 Depth=2
                                        ; =>    This Inner Loop Header: Depth=3
	s_or_b32 s44, s44, exec_lo
	s_mov_b32 s45, exec_lo
	v_cmpx_lt_i32_e64 v15, v30
	s_cbranch_execz .LBB27_13
; %bb.15:                               ;   in Loop: Header=BB27_14 Depth=3
	v_mov_b32_e32 v16, v6
	v_lshlrev_b64 v[31:32], 2, v[5:6]
	s_mov_b32 s1, exec_lo
	v_lshlrev_b64 v[33:34], 2, v[15:16]
	v_add_co_u32 v31, vcc_lo, v26, v31
	v_add_co_ci_u32_e64 v32, null, v27, v32, vcc_lo
	v_add_co_u32 v33, vcc_lo, v17, v33
	v_add_co_ci_u32_e64 v34, null, v18, v34, vcc_lo
	global_load_dword v21, v[31:32], off
	global_load_dword v31, v[33:34], off
	s_waitcnt vmcnt(1)
	v_subrev_nc_u32_e32 v21, s37, v21
	s_waitcnt vmcnt(0)
	v_subrev_nc_u32_e32 v31, s38, v31
	v_cmpx_eq_u32_e64 v21, v31
	s_cbranch_execz .LBB27_12
; %bb.16:                               ;   in Loop: Header=BB27_14 Depth=3
	v_lshlrev_b64 v[32:33], 3, v[5:6]
	v_lshlrev_b64 v[34:35], 3, v[15:16]
	v_add_co_u32 v32, vcc_lo, v28, v32
	v_add_co_ci_u32_e64 v33, null, v29, v33, vcc_lo
	v_add_co_u32 v34, vcc_lo, v19, v34
	v_add_co_ci_u32_e64 v35, null, v20, v35, vcc_lo
	global_load_dwordx2 v[32:33], v[32:33], off
	global_load_dwordx2 v[34:35], v[34:35], off
	s_waitcnt vmcnt(0)
	v_fma_f64 v[10:11], v[32:33], v[34:35], v[10:11]
	s_branch .LBB27_12
.LBB27_17:                              ;   in Loop: Header=BB27_10 Depth=2
	s_or_b32 exec_lo, exec_lo, s43
.LBB27_18:                              ;   in Loop: Header=BB27_10 Depth=2
	s_or_b32 exec_lo, exec_lo, s2
	v_lshlrev_b64 v[16:17], 3, v[7:8]
	v_cmp_le_i32_e64 s1, v1, v12
	s_mov_b32 s2, exec_lo
	v_add_co_u32 v16, vcc_lo, s30, v16
	v_add_co_ci_u32_e64 v17, null, s31, v17, vcc_lo
	global_load_dwordx2 v[16:17], v[16:17], off
	s_waitcnt vmcnt(0)
	v_add_f64 v[18:19], v[16:17], -v[10:11]
	v_cmpx_gt_i32_e64 v1, v12
	s_cbranch_execz .LBB27_20
; %bb.19:                               ;   in Loop: Header=BB27_10 Depth=2
	v_lshlrev_b64 v[20:21], 3, v[12:13]
	v_add_co_u32 v20, vcc_lo, s6, v20
	v_add_co_ci_u32_e64 v21, null, s7, v21, vcc_lo
	global_load_dwordx2 v[20:21], v[20:21], off
	s_waitcnt vmcnt(0)
	v_div_scale_f64 v[31:32], null, v[20:21], v[20:21], v[18:19]
	v_rcp_f64_e32 v[33:34], v[31:32]
	v_fma_f64 v[35:36], -v[31:32], v[33:34], 1.0
	v_fma_f64 v[33:34], v[33:34], v[35:36], v[33:34]
	v_fma_f64 v[35:36], -v[31:32], v[33:34], 1.0
	v_fma_f64 v[33:34], v[33:34], v[35:36], v[33:34]
	v_div_scale_f64 v[35:36], vcc_lo, v[18:19], v[20:21], v[18:19]
	v_mul_f64 v[37:38], v[35:36], v[33:34]
	v_fma_f64 v[31:32], -v[31:32], v[37:38], v[35:36]
	v_div_fmas_f64 v[31:32], v[31:32], v[33:34], v[37:38]
	v_div_fixup_f64 v[18:19], v[31:32], v[20:21], v[18:19]
.LBB27_20:                              ;   in Loop: Header=BB27_10 Depth=2
	s_or_b32 exec_lo, exec_lo, s2
	s_mov_b32 s43, exec_lo
	v_cmp_lt_i32_e32 vcc_lo, v15, v30
	v_cmpx_ge_i32_e64 v15, v30
	s_xor_b32 s43, exec_lo, s43
	s_cbranch_execnz .LBB27_24
; %bb.21:                               ;   in Loop: Header=BB27_10 Depth=2
	s_andn2_saveexec_b32 s43, s43
	s_cbranch_execnz .LBB27_33
.LBB27_22:                              ;   in Loop: Header=BB27_10 Depth=2
	s_or_b32 exec_lo, exec_lo, s43
	s_mov_b32 s43, exec_lo
	v_cmpx_eq_u32_e64 v1, v12
	s_cbranch_execnz .LBB27_40
.LBB27_23:                              ;   in Loop: Header=BB27_10 Depth=2
	s_or_b32 exec_lo, exec_lo, s43
	v_cmp_class_f64_e64 s43, v[18:19], 0x1f8
	s_and_saveexec_b32 s2, s43
	s_cbranch_execz .LBB27_9
	s_branch .LBB27_41
.LBB27_24:                              ;   in Loop: Header=BB27_10 Depth=2
	s_mov_b32 s44, exec_lo
	v_cmpx_lt_i32_e64 v5, v25
	s_cbranch_execz .LBB27_32
; %bb.25:                               ;   in Loop: Header=BB27_10 Depth=2
	v_mov_b32_e32 v8, v5
	s_mov_b32 s45, 0
                                        ; implicit-def: $sgpr46
                                        ; implicit-def: $sgpr48
                                        ; implicit-def: $sgpr47
	s_inst_prefetch 0x1
	s_branch .LBB27_27
	.p2align	6
.LBB27_26:                              ;   in Loop: Header=BB27_27 Depth=3
	s_or_b32 exec_lo, exec_lo, s49
	s_and_b32 s2, exec_lo, s48
	s_or_b32 s45, s2, s45
	s_andn2_b32 s2, s46, exec_lo
	s_and_b32 s46, s47, exec_lo
	s_or_b32 s46, s2, s46
	s_andn2_b32 exec_lo, exec_lo, s45
	s_cbranch_execz .LBB27_29
.LBB27_27:                              ;   Parent Loop BB27_6 Depth=1
                                        ;     Parent Loop BB27_10 Depth=2
                                        ; =>    This Inner Loop Header: Depth=3
	v_add_nc_u32_e32 v20, v9, v8
	s_or_b32 s47, s47, exec_lo
	s_or_b32 s48, s48, exec_lo
	s_mov_b32 s49, exec_lo
	v_ashrrev_i32_e32 v21, 31, v20
	v_lshlrev_b64 v[31:32], 2, v[20:21]
	v_add_co_u32 v31, s2, s20, v31
	v_add_co_ci_u32_e64 v32, null, s21, v32, s2
	global_load_dword v31, v[31:32], off
	s_waitcnt vmcnt(0)
	v_subrev_nc_u32_e32 v31, s37, v31
	v_cmpx_ne_u32_e64 v31, v12
	s_cbranch_execz .LBB27_26
; %bb.28:                               ;   in Loop: Header=BB27_27 Depth=3
	v_add_nc_u32_e32 v8, 1, v8
	s_andn2_b32 s48, s48, exec_lo
	s_andn2_b32 s47, s47, exec_lo
	v_cmp_ge_i32_e64 s2, v8, v25
	s_and_b32 s2, s2, exec_lo
	s_or_b32 s48, s48, s2
	s_branch .LBB27_26
.LBB27_29:                              ;   in Loop: Header=BB27_10 Depth=2
	s_inst_prefetch 0x2
	s_or_b32 exec_lo, exec_lo, s45
	s_and_saveexec_b32 s2, s46
	s_xor_b32 s45, exec_lo, s2
	s_cbranch_execz .LBB27_31
; %bb.30:                               ;   in Loop: Header=BB27_10 Depth=2
	v_lshlrev_b64 v[20:21], 3, v[20:21]
	v_lshlrev_b64 v[31:32], 3, v[12:13]
	v_add_co_u32 v20, s2, s22, v20
	v_add_co_ci_u32_e64 v21, null, s23, v21, s2
	v_add_co_u32 v31, s2, s6, v31
	v_add_co_ci_u32_e64 v32, null, s7, v32, s2
	global_load_dwordx2 v[20:21], v[20:21], off
	global_load_dwordx2 v[31:32], v[31:32], off
	s_waitcnt vmcnt(0)
	v_fma_f64 v[10:11], v[20:21], v[31:32], v[10:11]
.LBB27_31:                              ;   in Loop: Header=BB27_10 Depth=2
	s_or_b32 exec_lo, exec_lo, s45
.LBB27_32:                              ;   in Loop: Header=BB27_10 Depth=2
	s_or_b32 exec_lo, exec_lo, s44
	s_andn2_saveexec_b32 s43, s43
	s_cbranch_execz .LBB27_22
.LBB27_33:                              ;   in Loop: Header=BB27_10 Depth=2
	v_mov_b32_e32 v8, v15
	s_mov_b32 s44, 0
                                        ; implicit-def: $sgpr45
                                        ; implicit-def: $sgpr47
                                        ; implicit-def: $sgpr46
	s_inst_prefetch 0x1
	s_branch .LBB27_35
	.p2align	6
.LBB27_34:                              ;   in Loop: Header=BB27_35 Depth=3
	s_or_b32 exec_lo, exec_lo, s48
	s_and_b32 s2, exec_lo, s47
	s_or_b32 s44, s2, s44
	s_andn2_b32 s2, s45, exec_lo
	s_and_b32 s45, s46, exec_lo
	s_or_b32 s45, s2, s45
	s_andn2_b32 exec_lo, exec_lo, s44
	s_cbranch_execz .LBB27_37
.LBB27_35:                              ;   Parent Loop BB27_6 Depth=1
                                        ;     Parent Loop BB27_10 Depth=2
                                        ; =>    This Inner Loop Header: Depth=3
	v_add_nc_u32_e32 v20, v14, v8
	s_or_b32 s46, s46, exec_lo
	s_or_b32 s47, s47, exec_lo
	s_mov_b32 s48, exec_lo
	v_ashrrev_i32_e32 v21, 31, v20
	v_lshlrev_b64 v[31:32], 2, v[20:21]
	v_add_co_u32 v31, s2, s12, v31
	v_add_co_ci_u32_e64 v32, null, s13, v32, s2
	global_load_dword v31, v[31:32], off
	s_waitcnt vmcnt(0)
	v_subrev_nc_u32_e32 v31, s38, v31
	v_cmpx_ne_u32_e64 v31, v1
	s_cbranch_execz .LBB27_34
; %bb.36:                               ;   in Loop: Header=BB27_35 Depth=3
	v_add_nc_u32_e32 v8, 1, v8
	s_andn2_b32 s47, s47, exec_lo
	s_andn2_b32 s46, s46, exec_lo
	v_cmp_ge_i32_e64 s2, v8, v30
	s_and_b32 s2, s2, exec_lo
	s_or_b32 s47, s47, s2
	s_branch .LBB27_34
.LBB27_37:                              ;   in Loop: Header=BB27_10 Depth=2
	s_inst_prefetch 0x2
	s_or_b32 exec_lo, exec_lo, s44
	s_and_saveexec_b32 s2, s45
	s_xor_b32 s44, exec_lo, s2
	s_cbranch_execz .LBB27_39
; %bb.38:                               ;   in Loop: Header=BB27_10 Depth=2
	v_lshlrev_b64 v[20:21], 3, v[20:21]
	v_add_co_u32 v20, s2, s14, v20
	v_add_co_ci_u32_e64 v21, null, s15, v21, s2
	global_load_dwordx2 v[20:21], v[20:21], off
	s_waitcnt vmcnt(0)
	v_add_f64 v[10:11], v[10:11], v[20:21]
.LBB27_39:                              ;   in Loop: Header=BB27_10 Depth=2
	s_or_b32 exec_lo, exec_lo, s44
	s_or_b32 exec_lo, exec_lo, s43
	s_mov_b32 s43, exec_lo
	v_cmpx_eq_u32_e64 v1, v12
	s_cbranch_execz .LBB27_23
.LBB27_40:                              ;   in Loop: Header=BB27_10 Depth=2
	v_lshlrev_b64 v[20:21], 3, v[12:13]
	v_add_co_u32 v20, s2, s6, v20
	v_add_co_ci_u32_e64 v21, null, s7, v21, s2
	global_load_dwordx2 v[20:21], v[20:21], off
	s_waitcnt vmcnt(0)
	v_add_f64 v[10:11], v[10:11], v[20:21]
	s_or_b32 exec_lo, exec_lo, s43
	v_cmp_class_f64_e64 s43, v[18:19], 0x1f8
	s_and_saveexec_b32 s2, s43
	s_cbranch_execz .LBB27_9
.LBB27_41:                              ;   in Loop: Header=BB27_10 Depth=2
	s_and_saveexec_b32 s43, s1
	s_xor_b32 s43, exec_lo, s43
	s_cbranch_execz .LBB27_54
; %bb.42:                               ;   in Loop: Header=BB27_10 Depth=2
	s_mov_b32 s44, exec_lo
	v_cmpx_ge_i32_e64 v1, v12
	s_xor_b32 s44, exec_lo, s44
	s_cbranch_execz .LBB27_44
; %bb.43:                               ;   in Loop: Header=BB27_10 Depth=2
	v_lshlrev_b64 v[12:13], 3, v[12:13]
                                        ; implicit-def: $vgpr15
                                        ; implicit-def: $vgpr14
                                        ; implicit-def: $vgpr30
	v_add_co_u32 v12, s1, s6, v12
	v_add_co_ci_u32_e64 v13, null, s7, v13, s1
	global_store_dwordx2 v[12:13], v[18:19], off
                                        ; implicit-def: $vgpr18_vgpr19
.LBB27_44:                              ;   in Loop: Header=BB27_10 Depth=2
	s_andn2_saveexec_b32 s1, s44
	s_cbranch_execz .LBB27_53
; %bb.45:                               ;   in Loop: Header=BB27_10 Depth=2
	s_and_saveexec_b32 s44, vcc_lo
	s_cbranch_execz .LBB27_52
; %bb.46:                               ;   in Loop: Header=BB27_10 Depth=2
	s_mov_b32 s45, 0
                                        ; implicit-def: $sgpr46
                                        ; implicit-def: $sgpr48
                                        ; implicit-def: $sgpr47
	s_inst_prefetch 0x1
	s_branch .LBB27_48
	.p2align	6
.LBB27_47:                              ;   in Loop: Header=BB27_48 Depth=3
	s_or_b32 exec_lo, exec_lo, s49
	s_and_b32 s49, exec_lo, s48
	s_or_b32 s45, s49, s45
	s_andn2_b32 s46, s46, exec_lo
	s_and_b32 s49, s47, exec_lo
	s_or_b32 s46, s46, s49
	s_andn2_b32 exec_lo, exec_lo, s45
	s_cbranch_execz .LBB27_50
.LBB27_48:                              ;   Parent Loop BB27_6 Depth=1
                                        ;     Parent Loop BB27_10 Depth=2
                                        ; =>    This Inner Loop Header: Depth=3
	v_add_nc_u32_e32 v12, v14, v15
	s_or_b32 s47, s47, exec_lo
	s_or_b32 s48, s48, exec_lo
	s_mov_b32 s49, exec_lo
	v_ashrrev_i32_e32 v13, 31, v12
	v_lshlrev_b64 v[20:21], 2, v[12:13]
	v_add_co_u32 v20, vcc_lo, s12, v20
	v_add_co_ci_u32_e64 v21, null, s13, v21, vcc_lo
	global_load_dword v5, v[20:21], off
	s_waitcnt vmcnt(0)
	v_subrev_nc_u32_e32 v5, s38, v5
	v_cmpx_ne_u32_e64 v5, v1
	s_cbranch_execz .LBB27_47
; %bb.49:                               ;   in Loop: Header=BB27_48 Depth=3
	v_add_nc_u32_e32 v15, 1, v15
	s_andn2_b32 s48, s48, exec_lo
	s_andn2_b32 s47, s47, exec_lo
	v_cmp_ge_i32_e32 vcc_lo, v15, v30
	s_and_b32 s50, vcc_lo, exec_lo
	s_or_b32 s48, s48, s50
	s_branch .LBB27_47
.LBB27_50:                              ;   in Loop: Header=BB27_10 Depth=2
	s_inst_prefetch 0x2
	s_or_b32 exec_lo, exec_lo, s45
	s_and_saveexec_b32 s45, s46
	s_xor_b32 s45, exec_lo, s45
	s_cbranch_execz .LBB27_52
; %bb.51:                               ;   in Loop: Header=BB27_10 Depth=2
	v_lshlrev_b64 v[12:13], 3, v[12:13]
	v_add_co_u32 v12, vcc_lo, s14, v12
	v_add_co_ci_u32_e64 v13, null, s15, v13, vcc_lo
	global_store_dwordx2 v[12:13], v[18:19], off
.LBB27_52:                              ;   in Loop: Header=BB27_10 Depth=2
	s_or_b32 exec_lo, exec_lo, s44
.LBB27_53:                              ;   in Loop: Header=BB27_10 Depth=2
	s_or_b32 exec_lo, exec_lo, s1
                                        ; implicit-def: $vgpr18_vgpr19
                                        ; implicit-def: $vgpr12_vgpr13
.LBB27_54:                              ;   in Loop: Header=BB27_10 Depth=2
	s_andn2_saveexec_b32 s1, s43
	s_cbranch_execz .LBB27_9
; %bb.55:                               ;   in Loop: Header=BB27_10 Depth=2
	v_cmp_lt_i32_e32 vcc_lo, v5, v25
	s_and_b32 exec_lo, exec_lo, vcc_lo
	s_cbranch_execz .LBB27_9
; %bb.56:                               ;   in Loop: Header=BB27_10 Depth=2
	s_mov_b32 s1, 0
                                        ; implicit-def: $sgpr43
                                        ; implicit-def: $sgpr45
                                        ; implicit-def: $sgpr44
	s_inst_prefetch 0x1
	s_branch .LBB27_58
	.p2align	6
.LBB27_57:                              ;   in Loop: Header=BB27_58 Depth=3
	s_or_b32 exec_lo, exec_lo, s46
	s_and_b32 s46, exec_lo, s45
	s_or_b32 s1, s46, s1
	s_andn2_b32 s43, s43, exec_lo
	s_and_b32 s46, s44, exec_lo
	s_or_b32 s43, s43, s46
	s_andn2_b32 exec_lo, exec_lo, s1
	s_cbranch_execz .LBB27_60
.LBB27_58:                              ;   Parent Loop BB27_6 Depth=1
                                        ;     Parent Loop BB27_10 Depth=2
                                        ; =>    This Inner Loop Header: Depth=3
	v_add_nc_u32_e32 v13, v9, v5
	s_or_b32 s44, s44, exec_lo
	s_or_b32 s45, s45, exec_lo
	s_mov_b32 s46, exec_lo
	v_ashrrev_i32_e32 v14, 31, v13
	v_lshlrev_b64 v[20:21], 2, v[13:14]
	v_add_co_u32 v20, vcc_lo, s20, v20
	v_add_co_ci_u32_e64 v21, null, s21, v21, vcc_lo
	global_load_dword v8, v[20:21], off
	s_waitcnt vmcnt(0)
	v_subrev_nc_u32_e32 v8, s37, v8
	v_cmpx_ne_u32_e64 v8, v12
	s_cbranch_execz .LBB27_57
; %bb.59:                               ;   in Loop: Header=BB27_58 Depth=3
	v_add_nc_u32_e32 v5, 1, v5
	s_andn2_b32 s45, s45, exec_lo
	s_andn2_b32 s44, s44, exec_lo
	v_cmp_ge_i32_e32 vcc_lo, v5, v25
	s_and_b32 s47, vcc_lo, exec_lo
	s_or_b32 s45, s45, s47
	s_branch .LBB27_57
.LBB27_60:                              ;   in Loop: Header=BB27_10 Depth=2
	s_inst_prefetch 0x2
	s_or_b32 exec_lo, exec_lo, s1
	s_and_saveexec_b32 s1, s43
	s_xor_b32 s1, exec_lo, s1
	s_cbranch_execz .LBB27_9
; %bb.61:                               ;   in Loop: Header=BB27_10 Depth=2
	v_lshlrev_b64 v[12:13], 3, v[13:14]
	v_add_co_u32 v12, vcc_lo, s22, v12
	v_add_co_ci_u32_e64 v13, null, s23, v13, vcc_lo
	global_store_dwordx2 v[12:13], v[18:19], off
	s_branch .LBB27_9
.LBB27_62:
	s_or_b32 exec_lo, exec_lo, s39
.LBB27_63:
	s_or_b32 exec_lo, exec_lo, s34
.LBB27_64:
	s_or_b32 exec_lo, exec_lo, s3
	v_mbcnt_lo_u32_b32 v5, -1, 0
	v_or_b32_e32 v1, 32, v5
	v_xor_b32_e32 v6, 16, v5
	v_cmp_gt_i32_e32 vcc_lo, 32, v1
	v_cmp_gt_i32_e64 s0, 32, v6
	v_cndmask_b32_e32 v1, v5, v1, vcc_lo
	v_cndmask_b32_e64 v6, v5, v6, s0
	v_lshlrev_b32_e32 v2, 2, v1
	v_lshlrev_b32_e32 v6, 2, v6
	ds_bpermute_b32 v1, v2, v3
	ds_bpermute_b32 v2, v2, v4
	s_waitcnt lgkmcnt(0)
	v_cmp_lt_f64_e32 vcc_lo, v[3:4], v[1:2]
	v_cndmask_b32_e32 v2, v4, v2, vcc_lo
	v_cndmask_b32_e32 v1, v3, v1, vcc_lo
	ds_bpermute_b32 v4, v6, v2
	ds_bpermute_b32 v3, v6, v1
	v_xor_b32_e32 v6, 8, v5
	v_cmp_gt_i32_e64 s0, 32, v6
	v_cndmask_b32_e64 v6, v5, v6, s0
	v_lshlrev_b32_e32 v6, 2, v6
	s_waitcnt lgkmcnt(0)
	v_cmp_lt_f64_e32 vcc_lo, v[1:2], v[3:4]
	v_cndmask_b32_e32 v2, v2, v4, vcc_lo
	v_cndmask_b32_e32 v1, v1, v3, vcc_lo
	ds_bpermute_b32 v4, v6, v2
	ds_bpermute_b32 v3, v6, v1
	v_xor_b32_e32 v6, 4, v5
	v_cmp_gt_i32_e64 s0, 32, v6
	v_cndmask_b32_e64 v6, v5, v6, s0
	v_lshlrev_b32_e32 v6, 2, v6
	;; [unrolled: 10-line block ×3, first 2 shown]
	s_waitcnt lgkmcnt(0)
	v_cmp_lt_f64_e32 vcc_lo, v[1:2], v[3:4]
	v_cndmask_b32_e32 v2, v2, v4, vcc_lo
	v_cndmask_b32_e32 v1, v1, v3, vcc_lo
	ds_bpermute_b32 v4, v6, v2
	ds_bpermute_b32 v3, v6, v1
	v_xor_b32_e32 v6, 1, v5
	v_cmp_gt_i32_e64 s0, 32, v6
	v_cndmask_b32_e64 v5, v5, v6, s0
	s_mov_b32 s0, exec_lo
	v_lshlrev_b32_e32 v5, 2, v5
	s_waitcnt lgkmcnt(0)
	v_cmp_lt_f64_e32 vcc_lo, v[1:2], v[3:4]
	v_cndmask_b32_e32 v2, v2, v4, vcc_lo
	v_cndmask_b32_e32 v1, v1, v3, vcc_lo
	ds_bpermute_b32 v3, v5, v1
	ds_bpermute_b32 v5, v5, v2
	v_cmpx_eq_u32_e32 63, v23
	s_cbranch_execz .LBB27_66
; %bb.65:
	s_waitcnt lgkmcnt(0)
	v_mov_b32_e32 v4, v5
	v_cmp_lt_f64_e32 vcc_lo, v[1:2], v[3:4]
	v_lshlrev_b32_e32 v4, 3, v22
	v_cndmask_b32_e32 v2, v2, v5, vcc_lo
	v_cndmask_b32_e32 v1, v1, v3, vcc_lo
	ds_write_b64 v4, v[1:2]
.LBB27_66:
	s_or_b32 exec_lo, exec_lo, s0
	v_lshlrev_b32_e32 v1, 3, v0
	s_mov_b32 s0, exec_lo
	s_waitcnt lgkmcnt(0)
	s_waitcnt_vscnt null, 0x0
	s_barrier
	buffer_gl0_inv
	v_cmpx_gt_u32_e32 8, v0
	s_cbranch_execz .LBB27_68
; %bb.67:
	ds_read2_b64 v[2:5], v1 offset1:8
	s_waitcnt lgkmcnt(0)
	v_cmp_lt_f64_e32 vcc_lo, v[2:3], v[4:5]
	v_cndmask_b32_e32 v3, v3, v5, vcc_lo
	v_cndmask_b32_e32 v2, v2, v4, vcc_lo
	ds_write_b64 v1, v[2:3]
.LBB27_68:
	s_or_b32 exec_lo, exec_lo, s0
	s_mov_b32 s0, exec_lo
	s_waitcnt lgkmcnt(0)
	s_barrier
	buffer_gl0_inv
	v_cmpx_gt_u32_e32 4, v0
	s_cbranch_execz .LBB27_70
; %bb.69:
	ds_read2_b64 v[2:5], v1 offset1:4
	s_waitcnt lgkmcnt(0)
	v_cmp_lt_f64_e32 vcc_lo, v[2:3], v[4:5]
	v_cndmask_b32_e32 v3, v3, v5, vcc_lo
	v_cndmask_b32_e32 v2, v2, v4, vcc_lo
	ds_write_b64 v1, v[2:3]
.LBB27_70:
	s_or_b32 exec_lo, exec_lo, s0
	s_mov_b32 s0, exec_lo
	s_waitcnt lgkmcnt(0)
	s_barrier
	buffer_gl0_inv
	v_cmpx_gt_u32_e32 2, v0
	s_cbranch_execz .LBB27_72
; %bb.71:
	ds_read2_b64 v[2:5], v1 offset1:2
	s_waitcnt lgkmcnt(0)
	v_cmp_lt_f64_e32 vcc_lo, v[2:3], v[4:5]
	v_cndmask_b32_e32 v3, v3, v5, vcc_lo
	v_cndmask_b32_e32 v2, v2, v4, vcc_lo
	ds_write_b64 v1, v[2:3]
.LBB27_72:
	s_or_b32 exec_lo, exec_lo, s0
	v_cmp_eq_u32_e32 vcc_lo, 0, v0
	s_waitcnt lgkmcnt(0)
	s_barrier
	buffer_gl0_inv
	s_and_saveexec_b32 s1, vcc_lo
	s_cbranch_execz .LBB27_74
; %bb.73:
	v_mov_b32_e32 v4, 0
	ds_read_b128 v[0:3], v4
	s_waitcnt lgkmcnt(0)
	v_cmp_lt_f64_e64 s0, v[0:1], v[2:3]
	v_cndmask_b32_e64 v1, v1, v3, s0
	v_cndmask_b32_e64 v0, v0, v2, s0
	ds_write_b64 v4, v[0:1]
.LBB27_74:
	s_or_b32 exec_lo, exec_lo, s1
	s_waitcnt lgkmcnt(0)
	s_barrier
	buffer_gl0_inv
	s_and_saveexec_b32 s0, vcc_lo
	s_cbranch_execz .LBB27_78
; %bb.75:
	v_mbcnt_lo_u32_b32 v0, exec_lo, 0
	s_mov_b32 s6, 0
	v_cmp_eq_u32_e32 vcc_lo, 0, v0
	s_and_b32 exec_lo, exec_lo, vcc_lo
	s_cbranch_execz .LBB27_78
; %bb.76:
	s_load_dwordx4 s[0:3], s[4:5], 0x88
	v_mov_b32_e32 v6, 0
	ds_read_b64 v[0:1], v6
	s_waitcnt lgkmcnt(0)
	s_load_dwordx2 s[2:3], s[2:3], 0x0
	s_waitcnt lgkmcnt(0)
	v_div_scale_f64 v[2:3], null, s[2:3], s[2:3], v[0:1]
	v_rcp_f64_e32 v[4:5], v[2:3]
	v_fma_f64 v[7:8], -v[2:3], v[4:5], 1.0
	v_fma_f64 v[4:5], v[4:5], v[7:8], v[4:5]
	v_fma_f64 v[7:8], -v[2:3], v[4:5], 1.0
	v_fma_f64 v[4:5], v[4:5], v[7:8], v[4:5]
	v_div_scale_f64 v[7:8], vcc_lo, v[0:1], s[2:3], v[0:1]
	v_mul_f64 v[9:10], v[7:8], v[4:5]
	v_fma_f64 v[2:3], -v[2:3], v[9:10], v[7:8]
	v_div_fmas_f64 v[2:3], v[2:3], v[4:5], v[9:10]
	v_div_fixup_f64 v[0:1], v[2:3], s[2:3], v[0:1]
	s_load_dwordx2 s[2:3], s[0:1], 0x0
	s_waitcnt lgkmcnt(0)
	v_mov_b32_e32 v2, s2
	v_max_f64 v[4:5], v[0:1], v[0:1]
	v_mov_b32_e32 v3, s3
.LBB27_77:                              ; =>This Inner Loop Header: Depth=1
	v_max_f64 v[0:1], v[2:3], v[2:3]
	v_max_f64 v[0:1], v[0:1], v[4:5]
	global_atomic_cmpswap_x2 v[0:1], v6, v[0:3], s[0:1] glc
	s_waitcnt vmcnt(0)
	v_cmp_eq_u64_e32 vcc_lo, v[0:1], v[2:3]
	v_mov_b32_e32 v3, v1
	v_mov_b32_e32 v2, v0
	s_or_b32 s6, vcc_lo, s6
	s_andn2_b32 exec_lo, exec_lo, s6
	s_cbranch_execnz .LBB27_77
.LBB27_78:
	s_endpgm
	.section	.rodata,"a",@progbits
	.p2align	6, 0x0
	.amdhsa_kernel _ZN9rocsparseL17kernel_correctionILi1024ELi64EdiiEEvT3_T2_PKS2_S4_PKS1_PKT1_21rocsparse_index_base_S4_S4_S6_PS7_SA_S4_S4_S6_SB_SA_SB_PNS_15floating_traitsIS7_E6data_tEPKSE_
		.amdhsa_group_segment_fixed_size 128
		.amdhsa_private_segment_fixed_size 0
		.amdhsa_kernarg_size 152
		.amdhsa_user_sgpr_count 6
		.amdhsa_user_sgpr_private_segment_buffer 1
		.amdhsa_user_sgpr_dispatch_ptr 0
		.amdhsa_user_sgpr_queue_ptr 0
		.amdhsa_user_sgpr_kernarg_segment_ptr 1
		.amdhsa_user_sgpr_dispatch_id 0
		.amdhsa_user_sgpr_flat_scratch_init 0
		.amdhsa_user_sgpr_private_segment_size 0
		.amdhsa_wavefront_size32 1
		.amdhsa_uses_dynamic_stack 0
		.amdhsa_system_sgpr_private_segment_wavefront_offset 0
		.amdhsa_system_sgpr_workgroup_id_x 1
		.amdhsa_system_sgpr_workgroup_id_y 0
		.amdhsa_system_sgpr_workgroup_id_z 0
		.amdhsa_system_sgpr_workgroup_info 0
		.amdhsa_system_vgpr_workitem_id 0
		.amdhsa_next_free_vgpr 39
		.amdhsa_next_free_sgpr 51
		.amdhsa_reserve_vcc 1
		.amdhsa_reserve_flat_scratch 0
		.amdhsa_float_round_mode_32 0
		.amdhsa_float_round_mode_16_64 0
		.amdhsa_float_denorm_mode_32 3
		.amdhsa_float_denorm_mode_16_64 3
		.amdhsa_dx10_clamp 1
		.amdhsa_ieee_mode 1
		.amdhsa_fp16_overflow 0
		.amdhsa_workgroup_processor_mode 1
		.amdhsa_memory_ordered 1
		.amdhsa_forward_progress 1
		.amdhsa_shared_vgpr_count 0
		.amdhsa_exception_fp_ieee_invalid_op 0
		.amdhsa_exception_fp_denorm_src 0
		.amdhsa_exception_fp_ieee_div_zero 0
		.amdhsa_exception_fp_ieee_overflow 0
		.amdhsa_exception_fp_ieee_underflow 0
		.amdhsa_exception_fp_ieee_inexact 0
		.amdhsa_exception_int_div_zero 0
	.end_amdhsa_kernel
	.section	.text._ZN9rocsparseL17kernel_correctionILi1024ELi64EdiiEEvT3_T2_PKS2_S4_PKS1_PKT1_21rocsparse_index_base_S4_S4_S6_PS7_SA_S4_S4_S6_SB_SA_SB_PNS_15floating_traitsIS7_E6data_tEPKSE_,"axG",@progbits,_ZN9rocsparseL17kernel_correctionILi1024ELi64EdiiEEvT3_T2_PKS2_S4_PKS1_PKT1_21rocsparse_index_base_S4_S4_S6_PS7_SA_S4_S4_S6_SB_SA_SB_PNS_15floating_traitsIS7_E6data_tEPKSE_,comdat
.Lfunc_end27:
	.size	_ZN9rocsparseL17kernel_correctionILi1024ELi64EdiiEEvT3_T2_PKS2_S4_PKS1_PKT1_21rocsparse_index_base_S4_S4_S6_PS7_SA_S4_S4_S6_SB_SA_SB_PNS_15floating_traitsIS7_E6data_tEPKSE_, .Lfunc_end27-_ZN9rocsparseL17kernel_correctionILi1024ELi64EdiiEEvT3_T2_PKS2_S4_PKS1_PKT1_21rocsparse_index_base_S4_S4_S6_PS7_SA_S4_S4_S6_SB_SA_SB_PNS_15floating_traitsIS7_E6data_tEPKSE_
                                        ; -- End function
	.set _ZN9rocsparseL17kernel_correctionILi1024ELi64EdiiEEvT3_T2_PKS2_S4_PKS1_PKT1_21rocsparse_index_base_S4_S4_S6_PS7_SA_S4_S4_S6_SB_SA_SB_PNS_15floating_traitsIS7_E6data_tEPKSE_.num_vgpr, 39
	.set _ZN9rocsparseL17kernel_correctionILi1024ELi64EdiiEEvT3_T2_PKS2_S4_PKS1_PKT1_21rocsparse_index_base_S4_S4_S6_PS7_SA_S4_S4_S6_SB_SA_SB_PNS_15floating_traitsIS7_E6data_tEPKSE_.num_agpr, 0
	.set _ZN9rocsparseL17kernel_correctionILi1024ELi64EdiiEEvT3_T2_PKS2_S4_PKS1_PKT1_21rocsparse_index_base_S4_S4_S6_PS7_SA_S4_S4_S6_SB_SA_SB_PNS_15floating_traitsIS7_E6data_tEPKSE_.numbered_sgpr, 51
	.set _ZN9rocsparseL17kernel_correctionILi1024ELi64EdiiEEvT3_T2_PKS2_S4_PKS1_PKT1_21rocsparse_index_base_S4_S4_S6_PS7_SA_S4_S4_S6_SB_SA_SB_PNS_15floating_traitsIS7_E6data_tEPKSE_.num_named_barrier, 0
	.set _ZN9rocsparseL17kernel_correctionILi1024ELi64EdiiEEvT3_T2_PKS2_S4_PKS1_PKT1_21rocsparse_index_base_S4_S4_S6_PS7_SA_S4_S4_S6_SB_SA_SB_PNS_15floating_traitsIS7_E6data_tEPKSE_.private_seg_size, 0
	.set _ZN9rocsparseL17kernel_correctionILi1024ELi64EdiiEEvT3_T2_PKS2_S4_PKS1_PKT1_21rocsparse_index_base_S4_S4_S6_PS7_SA_S4_S4_S6_SB_SA_SB_PNS_15floating_traitsIS7_E6data_tEPKSE_.uses_vcc, 1
	.set _ZN9rocsparseL17kernel_correctionILi1024ELi64EdiiEEvT3_T2_PKS2_S4_PKS1_PKT1_21rocsparse_index_base_S4_S4_S6_PS7_SA_S4_S4_S6_SB_SA_SB_PNS_15floating_traitsIS7_E6data_tEPKSE_.uses_flat_scratch, 0
	.set _ZN9rocsparseL17kernel_correctionILi1024ELi64EdiiEEvT3_T2_PKS2_S4_PKS1_PKT1_21rocsparse_index_base_S4_S4_S6_PS7_SA_S4_S4_S6_SB_SA_SB_PNS_15floating_traitsIS7_E6data_tEPKSE_.has_dyn_sized_stack, 0
	.set _ZN9rocsparseL17kernel_correctionILi1024ELi64EdiiEEvT3_T2_PKS2_S4_PKS1_PKT1_21rocsparse_index_base_S4_S4_S6_PS7_SA_S4_S4_S6_SB_SA_SB_PNS_15floating_traitsIS7_E6data_tEPKSE_.has_recursion, 0
	.set _ZN9rocsparseL17kernel_correctionILi1024ELi64EdiiEEvT3_T2_PKS2_S4_PKS1_PKT1_21rocsparse_index_base_S4_S4_S6_PS7_SA_S4_S4_S6_SB_SA_SB_PNS_15floating_traitsIS7_E6data_tEPKSE_.has_indirect_call, 0
	.section	.AMDGPU.csdata,"",@progbits
; Kernel info:
; codeLenInByte = 3404
; TotalNumSgprs: 53
; NumVgprs: 39
; ScratchSize: 0
; MemoryBound: 1
; FloatMode: 240
; IeeeMode: 1
; LDSByteSize: 128 bytes/workgroup (compile time only)
; SGPRBlocks: 0
; VGPRBlocks: 4
; NumSGPRsForWavesPerEU: 53
; NumVGPRsForWavesPerEU: 39
; Occupancy: 16
; WaveLimiterHint : 1
; COMPUTE_PGM_RSRC2:SCRATCH_EN: 0
; COMPUTE_PGM_RSRC2:USER_SGPR: 6
; COMPUTE_PGM_RSRC2:TRAP_HANDLER: 0
; COMPUTE_PGM_RSRC2:TGID_X_EN: 1
; COMPUTE_PGM_RSRC2:TGID_Y_EN: 0
; COMPUTE_PGM_RSRC2:TGID_Z_EN: 0
; COMPUTE_PGM_RSRC2:TIDIG_COMP_CNT: 0
	.section	.text._ZN9rocsparseL25kernel_correction_no_normILi1024ELi1E21rocsparse_complex_numIfEiiEEvT3_T2_PKS4_S6_PKS3_PKT1_21rocsparse_index_base_S6_S6_S8_PS9_SC_S6_S6_S8_SD_SC_SD_,"axG",@progbits,_ZN9rocsparseL25kernel_correction_no_normILi1024ELi1E21rocsparse_complex_numIfEiiEEvT3_T2_PKS4_S6_PKS3_PKT1_21rocsparse_index_base_S6_S6_S8_PS9_SC_S6_S6_S8_SD_SC_SD_,comdat
	.globl	_ZN9rocsparseL25kernel_correction_no_normILi1024ELi1E21rocsparse_complex_numIfEiiEEvT3_T2_PKS4_S6_PKS3_PKT1_21rocsparse_index_base_S6_S6_S8_PS9_SC_S6_S6_S8_SD_SC_SD_ ; -- Begin function _ZN9rocsparseL25kernel_correction_no_normILi1024ELi1E21rocsparse_complex_numIfEiiEEvT3_T2_PKS4_S6_PKS3_PKT1_21rocsparse_index_base_S6_S6_S8_PS9_SC_S6_S6_S8_SD_SC_SD_
	.p2align	8
	.type	_ZN9rocsparseL25kernel_correction_no_normILi1024ELi1E21rocsparse_complex_numIfEiiEEvT3_T2_PKS4_S6_PKS3_PKT1_21rocsparse_index_base_S6_S6_S8_PS9_SC_S6_S6_S8_SD_SC_SD_,@function
_ZN9rocsparseL25kernel_correction_no_normILi1024ELi1E21rocsparse_complex_numIfEiiEEvT3_T2_PKS4_S6_PKS3_PKT1_21rocsparse_index_base_S6_S6_S8_PS9_SC_S6_S6_S8_SD_SC_SD_: ; @_ZN9rocsparseL25kernel_correction_no_normILi1024ELi1E21rocsparse_complex_numIfEiiEEvT3_T2_PKS4_S6_PKS3_PKT1_21rocsparse_index_base_S6_S6_S8_PS9_SC_S6_S6_S8_SD_SC_SD_
; %bb.0:
	s_load_dword s3, s[4:5], 0x0
	s_lshl_b32 s33, s6, 10
	s_mov_b32 s0, exec_lo
	v_or_b32_e32 v0, s33, v0
	s_waitcnt lgkmcnt(0)
	v_cmpx_gt_i32_e64 s3, v0
	s_cbranch_execz .LBB28_51
; %bb.1:
	s_addk_i32 s33, 0x400
	v_cmp_gt_u32_e32 vcc_lo, s33, v0
	s_and_b32 exec_lo, exec_lo, vcc_lo
	s_cbranch_execz .LBB28_51
; %bb.2:
	s_clause 0x6
	s_load_dwordx8 s[8:15], s[4:5], 0x58
	s_load_dwordx8 s[16:23], s[4:5], 0x30
	;; [unrolled: 1-line block ×3, first 2 shown]
	s_load_dword s34, s[4:5], 0x28
	s_load_dword s35, s[4:5], 0x50
	s_load_dwordx2 s[6:7], s[4:5], 0x80
	s_load_dword s4, s[4:5], 0x78
	v_mov_b32_e32 v2, 0
	s_mov_b32 s5, 0
	s_branch .LBB28_4
.LBB28_3:                               ;   in Loop: Header=BB28_4 Depth=1
	s_or_b32 exec_lo, exec_lo, s36
	v_add_nc_u32_e32 v0, 0x400, v0
	v_cmp_le_u32_e32 vcc_lo, s33, v0
	s_or_b32 s5, vcc_lo, s5
	s_andn2_b32 exec_lo, exec_lo, s5
	s_cbranch_execz .LBB28_51
.LBB28_4:                               ; =>This Loop Header: Depth=1
                                        ;     Child Loop BB28_8 Depth 2
                                        ;       Child Loop BB28_12 Depth 3
                                        ;       Child Loop BB28_34 Depth 3
	;; [unrolled: 1-line block ×3, first 2 shown]
	s_mov_b32 s36, exec_lo
	v_cmpx_gt_i32_e64 s3, v0
	s_cbranch_execz .LBB28_3
; %bb.5:                                ;   in Loop: Header=BB28_4 Depth=1
	v_ashrrev_i32_e32 v1, 31, v0
	v_lshlrev_b64 v[3:4], 2, v[0:1]
	s_waitcnt lgkmcnt(0)
	v_add_co_u32 v5, vcc_lo, s24, v3
	v_add_co_ci_u32_e64 v6, null, s25, v4, vcc_lo
	v_add_co_u32 v7, vcc_lo, s26, v3
	v_add_co_ci_u32_e64 v8, null, s27, v4, vcc_lo
	global_load_dword v1, v[5:6], off
	global_load_dword v5, v[7:8], off
	s_waitcnt vmcnt(0)
	v_cmp_lt_i32_e32 vcc_lo, v1, v5
	s_and_b32 exec_lo, exec_lo, vcc_lo
	s_cbranch_execz .LBB28_3
; %bb.6:                                ;   in Loop: Header=BB28_4 Depth=1
	v_add_co_u32 v6, vcc_lo, s16, v3
	v_add_co_ci_u32_e64 v7, null, s17, v4, vcc_lo
	v_add_co_u32 v3, vcc_lo, s18, v3
	v_add_co_ci_u32_e64 v4, null, s19, v4, vcc_lo
	global_load_dword v8, v[6:7], off
	v_subrev_nc_u32_e32 v13, s34, v5
	v_subrev_nc_u32_e32 v5, s34, v1
	global_load_dword v9, v[3:4], off
	s_mov_b32 s37, 0
	s_waitcnt vmcnt(1)
	v_subrev_nc_u32_e32 v3, s35, v8
	s_waitcnt vmcnt(0)
	v_sub_nc_u32_e32 v14, v9, v8
	v_ashrrev_i32_e32 v4, 31, v3
	v_cmp_lt_i32_e64 s0, 0, v14
	v_lshlrev_b64 v[6:7], 2, v[3:4]
	v_lshlrev_b64 v[8:9], 3, v[3:4]
	v_add_co_u32 v4, vcc_lo, s20, v6
	v_add_co_ci_u32_e64 v15, null, s21, v7, vcc_lo
	v_add_co_u32 v16, vcc_lo, s22, v8
	v_add_co_ci_u32_e64 v17, null, s23, v9, vcc_lo
	s_branch .LBB28_8
.LBB28_7:                               ;   in Loop: Header=BB28_8 Depth=2
	s_or_b32 exec_lo, exec_lo, s2
	v_add_nc_u32_e32 v5, 1, v5
	v_cmp_ge_i32_e32 vcc_lo, v5, v13
	s_or_b32 s37, vcc_lo, s37
	s_andn2_b32 exec_lo, exec_lo, s37
	s_cbranch_execz .LBB28_3
.LBB28_8:                               ;   Parent Loop BB28_4 Depth=1
                                        ; =>  This Loop Header: Depth=2
                                        ;       Child Loop BB28_12 Depth 3
                                        ;       Child Loop BB28_34 Depth 3
	;; [unrolled: 1-line block ×3, first 2 shown]
	v_ashrrev_i32_e32 v6, 31, v5
	v_mov_b32_e32 v18, 0
	v_lshlrev_b64 v[7:8], 2, v[5:6]
	v_add_co_u32 v7, vcc_lo, s28, v7
	v_add_co_ci_u32_e64 v8, null, s29, v8, vcc_lo
	global_load_dword v1, v[7:8], off
	s_waitcnt vmcnt(0)
	v_subrev_nc_u32_e32 v7, s34, v1
	v_mov_b32_e32 v1, 0
	v_ashrrev_i32_e32 v8, 31, v7
	v_lshlrev_b64 v[9:10], 2, v[7:8]
	v_add_co_u32 v11, vcc_lo, s8, v9
	v_add_co_ci_u32_e64 v12, null, s9, v10, vcc_lo
	v_add_co_u32 v9, vcc_lo, s10, v9
	v_add_co_ci_u32_e64 v10, null, s11, v10, vcc_lo
	global_load_dword v11, v[11:12], off
	global_load_dword v10, v[9:10], off
	v_mov_b32_e32 v12, 0
	s_waitcnt vmcnt(1)
	v_subrev_nc_u32_e32 v9, s4, v11
	s_waitcnt vmcnt(0)
	v_sub_nc_u32_e32 v19, v10, v11
	v_mov_b32_e32 v10, v1
	s_and_saveexec_b32 s2, s0
	s_cbranch_execz .LBB28_16
; %bb.9:                                ;   in Loop: Header=BB28_8 Depth=2
	v_ashrrev_i32_e32 v10, 31, v9
	v_mov_b32_e32 v12, 0
	v_mov_b32_e32 v1, 0
	;; [unrolled: 1-line block ×3, first 2 shown]
	s_mov_b32 s38, 0
	v_lshlrev_b64 v[20:21], 2, v[9:10]
	v_lshlrev_b64 v[10:11], 3, v[9:10]
                                        ; implicit-def: $sgpr39
	v_add_co_u32 v20, vcc_lo, s12, v20
	v_add_co_ci_u32_e64 v21, null, s13, v21, vcc_lo
	v_add_co_u32 v22, vcc_lo, s14, v10
	v_add_co_ci_u32_e64 v23, null, s15, v11, vcc_lo
	v_mov_b32_e32 v10, 0
	s_branch .LBB28_12
.LBB28_10:                              ;   in Loop: Header=BB28_12 Depth=3
	s_or_b32 exec_lo, exec_lo, s1
	v_cmp_le_i32_e32 vcc_lo, v24, v25
	v_cmp_ge_i32_e64 s1, v24, v25
	v_add_co_ci_u32_e64 v1, null, 0, v1, vcc_lo
	v_add_co_ci_u32_e64 v10, null, 0, v10, s1
	s_andn2_b32 s1, s39, exec_lo
	v_cmp_ge_i32_e32 vcc_lo, v1, v14
	s_and_b32 s39, vcc_lo, exec_lo
	s_or_b32 s39, s1, s39
.LBB28_11:                              ;   in Loop: Header=BB28_12 Depth=3
	s_or_b32 exec_lo, exec_lo, s40
	s_and_b32 s1, exec_lo, s39
	s_or_b32 s38, s1, s38
	s_andn2_b32 exec_lo, exec_lo, s38
	s_cbranch_execz .LBB28_15
.LBB28_12:                              ;   Parent Loop BB28_4 Depth=1
                                        ;     Parent Loop BB28_8 Depth=2
                                        ; =>    This Inner Loop Header: Depth=3
	s_or_b32 s39, s39, exec_lo
	s_mov_b32 s40, exec_lo
	v_cmpx_lt_i32_e64 v10, v19
	s_cbranch_execz .LBB28_11
; %bb.13:                               ;   in Loop: Header=BB28_12 Depth=3
	v_mov_b32_e32 v11, v2
	v_lshlrev_b64 v[24:25], 2, v[1:2]
	s_mov_b32 s1, exec_lo
	v_lshlrev_b64 v[26:27], 2, v[10:11]
	v_add_co_u32 v24, vcc_lo, v4, v24
	v_add_co_ci_u32_e64 v25, null, v15, v25, vcc_lo
	v_add_co_u32 v26, vcc_lo, v20, v26
	v_add_co_ci_u32_e64 v27, null, v21, v27, vcc_lo
	global_load_dword v24, v[24:25], off
	global_load_dword v25, v[26:27], off
	s_waitcnt vmcnt(1)
	v_subrev_nc_u32_e32 v24, s35, v24
	s_waitcnt vmcnt(0)
	v_subrev_nc_u32_e32 v25, s4, v25
	v_cmpx_eq_u32_e64 v24, v25
	s_cbranch_execz .LBB28_10
; %bb.14:                               ;   in Loop: Header=BB28_12 Depth=3
	v_lshlrev_b64 v[26:27], 3, v[1:2]
	v_lshlrev_b64 v[28:29], 3, v[10:11]
	v_add_co_u32 v26, vcc_lo, v16, v26
	v_add_co_ci_u32_e64 v27, null, v17, v27, vcc_lo
	v_add_co_u32 v28, vcc_lo, v22, v28
	v_add_co_ci_u32_e64 v29, null, v23, v29, vcc_lo
	global_load_dwordx2 v[26:27], v[26:27], off
	global_load_dwordx2 v[28:29], v[28:29], off
	s_waitcnt vmcnt(0)
	v_fmac_f32_e32 v12, v26, v28
	v_fmac_f32_e32 v18, v27, v28
	v_fma_f32 v12, -v27, v29, v12
	v_fmac_f32_e32 v18, v26, v29
	s_branch .LBB28_10
.LBB28_15:                              ;   in Loop: Header=BB28_8 Depth=2
	s_or_b32 exec_lo, exec_lo, s38
.LBB28_16:                              ;   in Loop: Header=BB28_8 Depth=2
	s_or_b32 exec_lo, exec_lo, s2
	v_lshlrev_b64 v[20:21], 3, v[5:6]
	v_cmp_le_i32_e64 s1, v0, v7
	s_mov_b32 s2, exec_lo
	v_add_co_u32 v20, vcc_lo, s30, v20
	v_add_co_ci_u32_e64 v21, null, s31, v21, vcc_lo
	global_load_dwordx2 v[20:21], v[20:21], off
	s_waitcnt vmcnt(0)
	v_sub_f32_e32 v20, v20, v12
	v_sub_f32_e32 v18, v21, v18
	v_cmpx_gt_i32_e64 v0, v7
	s_cbranch_execz .LBB28_18
; %bb.17:                               ;   in Loop: Header=BB28_8 Depth=2
	v_lshlrev_b64 v[11:12], 3, v[7:8]
	v_add_co_u32 v11, vcc_lo, s6, v11
	v_add_co_ci_u32_e64 v12, null, s7, v12, vcc_lo
	global_load_dwordx2 v[11:12], v[11:12], off
	s_waitcnt vmcnt(0)
	v_mul_f32_e32 v6, v12, v12
	v_fmac_f32_e32 v6, v11, v11
	v_div_scale_f32 v21, null, v6, v6, 1.0
	v_div_scale_f32 v24, vcc_lo, 1.0, v6, 1.0
	v_rcp_f32_e32 v22, v21
	v_fma_f32 v23, -v21, v22, 1.0
	v_fmac_f32_e32 v22, v23, v22
	v_mul_f32_e32 v23, v24, v22
	v_fma_f32 v25, -v21, v23, v24
	v_fmac_f32_e32 v23, v25, v22
	v_fma_f32 v21, -v21, v23, v24
	v_div_fmas_f32 v21, v21, v22, v23
	v_mul_f32_e32 v22, v18, v12
	v_mul_f32_e64 v12, v12, -v20
	v_div_fixup_f32 v6, v21, v6, 1.0
	v_fmac_f32_e32 v22, v20, v11
	v_fmac_f32_e32 v12, v18, v11
	v_mul_f32_e32 v20, v22, v6
	v_mul_f32_e32 v18, v12, v6
.LBB28_18:                              ;   in Loop: Header=BB28_8 Depth=2
	s_or_b32 exec_lo, exec_lo, s2
	v_cmp_gt_f32_e32 vcc_lo, 0, v20
                                        ; implicit-def: $vgpr12
	s_mov_b32 s2, exec_lo
	v_cndmask_b32_e64 v6, v20, -v20, vcc_lo
	v_cmp_gt_f32_e32 vcc_lo, 0, v18
	v_cndmask_b32_e64 v11, v18, -v18, vcc_lo
	v_cmpx_ngt_f32_e32 v6, v11
	s_xor_b32 s38, exec_lo, s2
	s_cbranch_execnz .LBB28_21
; %bb.19:                               ;   in Loop: Header=BB28_8 Depth=2
	s_andn2_saveexec_b32 s38, s38
	s_cbranch_execnz .LBB28_24
.LBB28_20:                              ;   in Loop: Header=BB28_8 Depth=2
	s_or_b32 exec_lo, exec_lo, s38
	v_cmp_class_f32_e64 s38, v12, 0x1f8
	s_and_saveexec_b32 s2, s38
	s_cbranch_execz .LBB28_7
	s_branch .LBB28_25
.LBB28_21:                              ;   in Loop: Header=BB28_8 Depth=2
	v_mov_b32_e32 v12, 0
	s_mov_b32 s39, exec_lo
	v_cmpx_neq_f32_e32 0, v18
	s_cbranch_execz .LBB28_23
; %bb.22:                               ;   in Loop: Header=BB28_8 Depth=2
	v_div_scale_f32 v12, null, v11, v11, v6
	v_div_scale_f32 v23, vcc_lo, v6, v11, v6
	v_rcp_f32_e32 v21, v12
	v_fma_f32 v22, -v12, v21, 1.0
	v_fmac_f32_e32 v21, v22, v21
	v_mul_f32_e32 v22, v23, v21
	v_fma_f32 v24, -v12, v22, v23
	v_fmac_f32_e32 v22, v24, v21
	v_fma_f32 v12, -v12, v22, v23
	v_div_fmas_f32 v12, v12, v21, v22
	v_div_fixup_f32 v6, v12, v11, v6
	v_fma_f32 v6, v6, v6, 1.0
	v_mul_f32_e32 v12, 0x4f800000, v6
	v_cmp_gt_f32_e32 vcc_lo, 0xf800000, v6
	v_cndmask_b32_e32 v6, v6, v12, vcc_lo
	v_sqrt_f32_e32 v12, v6
	v_add_nc_u32_e32 v21, -1, v12
	v_add_nc_u32_e32 v22, 1, v12
	v_fma_f32 v23, -v21, v12, v6
	v_fma_f32 v24, -v22, v12, v6
	v_cmp_ge_f32_e64 s2, 0, v23
	v_cndmask_b32_e64 v12, v12, v21, s2
	v_cmp_lt_f32_e64 s2, 0, v24
	v_cndmask_b32_e64 v12, v12, v22, s2
	v_mul_f32_e32 v21, 0x37800000, v12
	v_cndmask_b32_e32 v12, v12, v21, vcc_lo
	v_cmp_class_f32_e64 vcc_lo, v6, 0x260
	v_cndmask_b32_e32 v6, v12, v6, vcc_lo
	v_mul_f32_e32 v12, v11, v6
.LBB28_23:                              ;   in Loop: Header=BB28_8 Depth=2
	s_or_b32 exec_lo, exec_lo, s39
                                        ; implicit-def: $vgpr6
                                        ; implicit-def: $vgpr11
	s_andn2_saveexec_b32 s38, s38
	s_cbranch_execz .LBB28_20
.LBB28_24:                              ;   in Loop: Header=BB28_8 Depth=2
	v_div_scale_f32 v12, null, v6, v6, v11
	v_div_scale_f32 v23, vcc_lo, v11, v6, v11
	v_rcp_f32_e32 v21, v12
	v_fma_f32 v22, -v12, v21, 1.0
	v_fmac_f32_e32 v21, v22, v21
	v_mul_f32_e32 v22, v23, v21
	v_fma_f32 v24, -v12, v22, v23
	v_fmac_f32_e32 v22, v24, v21
	v_fma_f32 v12, -v12, v22, v23
	v_div_fmas_f32 v12, v12, v21, v22
	v_div_fixup_f32 v11, v12, v6, v11
	v_fma_f32 v11, v11, v11, 1.0
	v_mul_f32_e32 v12, 0x4f800000, v11
	v_cmp_gt_f32_e32 vcc_lo, 0xf800000, v11
	v_cndmask_b32_e32 v11, v11, v12, vcc_lo
	v_sqrt_f32_e32 v12, v11
	v_add_nc_u32_e32 v21, -1, v12
	v_add_nc_u32_e32 v22, 1, v12
	v_fma_f32 v23, -v21, v12, v11
	v_fma_f32 v24, -v22, v12, v11
	v_cmp_ge_f32_e64 s2, 0, v23
	v_cndmask_b32_e64 v12, v12, v21, s2
	v_cmp_lt_f32_e64 s2, 0, v24
	v_cndmask_b32_e64 v12, v12, v22, s2
	v_mul_f32_e32 v21, 0x37800000, v12
	v_cndmask_b32_e32 v12, v12, v21, vcc_lo
	v_cmp_class_f32_e64 vcc_lo, v11, 0x260
	v_cndmask_b32_e32 v11, v12, v11, vcc_lo
	v_mul_f32_e32 v12, v6, v11
	s_or_b32 exec_lo, exec_lo, s38
	v_cmp_class_f32_e64 s38, v12, 0x1f8
	s_and_saveexec_b32 s2, s38
	s_cbranch_execz .LBB28_7
.LBB28_25:                              ;   in Loop: Header=BB28_8 Depth=2
	s_mov_b32 s38, 0
                                        ; implicit-def: $vgpr11_vgpr12
	s_and_saveexec_b32 s39, s1
	s_xor_b32 s1, exec_lo, s39
	s_cbranch_execnz .LBB28_28
; %bb.26:                               ;   in Loop: Header=BB28_8 Depth=2
	s_andn2_saveexec_b32 s1, s1
	s_cbranch_execnz .LBB28_41
.LBB28_27:                              ;   in Loop: Header=BB28_8 Depth=2
	s_or_b32 exec_lo, exec_lo, s1
	s_and_b32 exec_lo, exec_lo, s38
	s_cbranch_execz .LBB28_7
	s_branch .LBB28_50
.LBB28_28:                              ;   in Loop: Header=BB28_8 Depth=2
	s_mov_b32 s39, exec_lo
                                        ; implicit-def: $vgpr11_vgpr12
	v_cmpx_ge_i32_e64 v0, v7
	s_xor_b32 s39, exec_lo, s39
	s_cbranch_execz .LBB28_30
; %bb.29:                               ;   in Loop: Header=BB28_8 Depth=2
	v_lshlrev_b64 v[6:7], 3, v[7:8]
	s_mov_b32 s38, exec_lo
                                        ; implicit-def: $vgpr10
                                        ; implicit-def: $vgpr19
                                        ; implicit-def: $vgpr9
	v_add_co_u32 v11, vcc_lo, s6, v6
	v_add_co_ci_u32_e64 v12, null, s7, v7, vcc_lo
	global_store_dword v[11:12], v20, off
                                        ; implicit-def: $vgpr20
.LBB28_30:                              ;   in Loop: Header=BB28_8 Depth=2
	s_andn2_saveexec_b32 s39, s39
	s_cbranch_execz .LBB28_40
; %bb.31:                               ;   in Loop: Header=BB28_8 Depth=2
	s_mov_b32 s41, s38
	s_mov_b32 s40, exec_lo
                                        ; implicit-def: $vgpr11_vgpr12
	v_cmpx_lt_i32_e64 v10, v19
	s_cbranch_execz .LBB28_39
; %bb.32:                               ;   in Loop: Header=BB28_8 Depth=2
	s_mov_b32 s42, 0
                                        ; implicit-def: $sgpr41
                                        ; implicit-def: $sgpr44
                                        ; implicit-def: $sgpr43
	s_inst_prefetch 0x1
	s_branch .LBB28_34
	.p2align	6
.LBB28_33:                              ;   in Loop: Header=BB28_34 Depth=3
	s_or_b32 exec_lo, exec_lo, s45
	s_and_b32 s45, exec_lo, s44
	s_or_b32 s42, s45, s42
	s_andn2_b32 s41, s41, exec_lo
	s_and_b32 s45, s43, exec_lo
	s_or_b32 s41, s41, s45
	s_andn2_b32 exec_lo, exec_lo, s42
	s_cbranch_execz .LBB28_36
.LBB28_34:                              ;   Parent Loop BB28_4 Depth=1
                                        ;     Parent Loop BB28_8 Depth=2
                                        ; =>    This Inner Loop Header: Depth=3
	v_add_nc_u32_e32 v6, v9, v10
	s_or_b32 s43, s43, exec_lo
	s_or_b32 s44, s44, exec_lo
	s_mov_b32 s45, exec_lo
	v_ashrrev_i32_e32 v7, 31, v6
	v_lshlrev_b64 v[11:12], 2, v[6:7]
	v_add_co_u32 v11, vcc_lo, s12, v11
	v_add_co_ci_u32_e64 v12, null, s13, v12, vcc_lo
	global_load_dword v1, v[11:12], off
	s_waitcnt vmcnt(0)
	v_subrev_nc_u32_e32 v1, s4, v1
	v_cmpx_ne_u32_e64 v1, v0
	s_cbranch_execz .LBB28_33
; %bb.35:                               ;   in Loop: Header=BB28_34 Depth=3
	v_add_nc_u32_e32 v10, 1, v10
	s_andn2_b32 s44, s44, exec_lo
	s_andn2_b32 s43, s43, exec_lo
	v_cmp_ge_i32_e32 vcc_lo, v10, v19
	s_and_b32 s46, vcc_lo, exec_lo
	s_or_b32 s44, s44, s46
	s_branch .LBB28_33
.LBB28_36:                              ;   in Loop: Header=BB28_8 Depth=2
	s_inst_prefetch 0x2
	s_or_b32 exec_lo, exec_lo, s42
	s_mov_b32 s42, s38
                                        ; implicit-def: $vgpr11_vgpr12
	s_and_saveexec_b32 s43, s41
	s_xor_b32 s41, exec_lo, s43
	s_cbranch_execz .LBB28_38
; %bb.37:                               ;   in Loop: Header=BB28_8 Depth=2
	v_lshlrev_b64 v[6:7], 3, v[6:7]
	s_or_b32 s42, s38, exec_lo
	v_add_co_u32 v11, vcc_lo, s14, v6
	v_add_co_ci_u32_e64 v12, null, s15, v7, vcc_lo
	global_store_dword v[11:12], v20, off
.LBB28_38:                              ;   in Loop: Header=BB28_8 Depth=2
	s_or_b32 exec_lo, exec_lo, s41
	s_andn2_b32 s41, s38, exec_lo
	s_and_b32 s42, s42, exec_lo
	s_or_b32 s41, s41, s42
.LBB28_39:                              ;   in Loop: Header=BB28_8 Depth=2
	s_or_b32 exec_lo, exec_lo, s40
	s_andn2_b32 s38, s38, exec_lo
	s_and_b32 s40, s41, exec_lo
	s_or_b32 s38, s38, s40
.LBB28_40:                              ;   in Loop: Header=BB28_8 Depth=2
	s_or_b32 exec_lo, exec_lo, s39
	s_and_b32 s38, s38, exec_lo
                                        ; implicit-def: $vgpr20
                                        ; implicit-def: $vgpr7_vgpr8
	s_andn2_saveexec_b32 s1, s1
	s_cbranch_execz .LBB28_27
.LBB28_41:                              ;   in Loop: Header=BB28_8 Depth=2
	s_mov_b32 s40, s38
	s_mov_b32 s39, exec_lo
                                        ; implicit-def: $vgpr11_vgpr12
	v_cmpx_lt_i32_e64 v1, v14
	s_cbranch_execz .LBB28_49
; %bb.42:                               ;   in Loop: Header=BB28_8 Depth=2
	s_mov_b32 s41, 0
                                        ; implicit-def: $sgpr40
                                        ; implicit-def: $sgpr43
                                        ; implicit-def: $sgpr42
	s_inst_prefetch 0x1
	s_branch .LBB28_44
	.p2align	6
.LBB28_43:                              ;   in Loop: Header=BB28_44 Depth=3
	s_or_b32 exec_lo, exec_lo, s44
	s_and_b32 s44, exec_lo, s43
	s_or_b32 s41, s44, s41
	s_andn2_b32 s40, s40, exec_lo
	s_and_b32 s44, s42, exec_lo
	s_or_b32 s40, s40, s44
	s_andn2_b32 exec_lo, exec_lo, s41
	s_cbranch_execz .LBB28_46
.LBB28_44:                              ;   Parent Loop BB28_4 Depth=1
                                        ;     Parent Loop BB28_8 Depth=2
                                        ; =>    This Inner Loop Header: Depth=3
	v_add_nc_u32_e32 v8, v3, v1
	s_or_b32 s42, s42, exec_lo
	s_or_b32 s43, s43, exec_lo
	s_mov_b32 s44, exec_lo
	v_ashrrev_i32_e32 v9, 31, v8
	v_lshlrev_b64 v[10:11], 2, v[8:9]
	v_add_co_u32 v10, vcc_lo, s20, v10
	v_add_co_ci_u32_e64 v11, null, s21, v11, vcc_lo
	global_load_dword v6, v[10:11], off
	s_waitcnt vmcnt(0)
	v_subrev_nc_u32_e32 v6, s35, v6
	v_cmpx_ne_u32_e64 v6, v7
	s_cbranch_execz .LBB28_43
; %bb.45:                               ;   in Loop: Header=BB28_44 Depth=3
	v_add_nc_u32_e32 v1, 1, v1
	s_andn2_b32 s43, s43, exec_lo
	s_andn2_b32 s42, s42, exec_lo
	v_cmp_ge_i32_e32 vcc_lo, v1, v14
	s_and_b32 s45, vcc_lo, exec_lo
	s_or_b32 s43, s43, s45
	s_branch .LBB28_43
.LBB28_46:                              ;   in Loop: Header=BB28_8 Depth=2
	s_inst_prefetch 0x2
	s_or_b32 exec_lo, exec_lo, s41
	s_mov_b32 s41, s38
                                        ; implicit-def: $vgpr11_vgpr12
	s_and_saveexec_b32 s42, s40
	s_xor_b32 s40, exec_lo, s42
	s_cbranch_execz .LBB28_48
; %bb.47:                               ;   in Loop: Header=BB28_8 Depth=2
	v_lshlrev_b64 v[6:7], 3, v[8:9]
	s_or_b32 s41, s38, exec_lo
	v_add_co_u32 v11, vcc_lo, s22, v6
	v_add_co_ci_u32_e64 v12, null, s23, v7, vcc_lo
	global_store_dword v[11:12], v20, off
.LBB28_48:                              ;   in Loop: Header=BB28_8 Depth=2
	s_or_b32 exec_lo, exec_lo, s40
	s_andn2_b32 s40, s38, exec_lo
	s_and_b32 s41, s41, exec_lo
	s_or_b32 s40, s40, s41
.LBB28_49:                              ;   in Loop: Header=BB28_8 Depth=2
	s_or_b32 exec_lo, exec_lo, s39
	s_andn2_b32 s38, s38, exec_lo
	s_and_b32 s39, s40, exec_lo
	s_or_b32 s38, s38, s39
	s_or_b32 exec_lo, exec_lo, s1
	s_and_b32 exec_lo, exec_lo, s38
	s_cbranch_execz .LBB28_7
.LBB28_50:                              ;   in Loop: Header=BB28_8 Depth=2
	global_store_dword v[11:12], v18, off offset:4
	s_branch .LBB28_7
.LBB28_51:
	s_endpgm
	.section	.rodata,"a",@progbits
	.p2align	6, 0x0
	.amdhsa_kernel _ZN9rocsparseL25kernel_correction_no_normILi1024ELi1E21rocsparse_complex_numIfEiiEEvT3_T2_PKS4_S6_PKS3_PKT1_21rocsparse_index_base_S6_S6_S8_PS9_SC_S6_S6_S8_SD_SC_SD_
		.amdhsa_group_segment_fixed_size 0
		.amdhsa_private_segment_fixed_size 0
		.amdhsa_kernarg_size 136
		.amdhsa_user_sgpr_count 6
		.amdhsa_user_sgpr_private_segment_buffer 1
		.amdhsa_user_sgpr_dispatch_ptr 0
		.amdhsa_user_sgpr_queue_ptr 0
		.amdhsa_user_sgpr_kernarg_segment_ptr 1
		.amdhsa_user_sgpr_dispatch_id 0
		.amdhsa_user_sgpr_flat_scratch_init 0
		.amdhsa_user_sgpr_private_segment_size 0
		.amdhsa_wavefront_size32 1
		.amdhsa_uses_dynamic_stack 0
		.amdhsa_system_sgpr_private_segment_wavefront_offset 0
		.amdhsa_system_sgpr_workgroup_id_x 1
		.amdhsa_system_sgpr_workgroup_id_y 0
		.amdhsa_system_sgpr_workgroup_id_z 0
		.amdhsa_system_sgpr_workgroup_info 0
		.amdhsa_system_vgpr_workitem_id 0
		.amdhsa_next_free_vgpr 30
		.amdhsa_next_free_sgpr 47
		.amdhsa_reserve_vcc 1
		.amdhsa_reserve_flat_scratch 0
		.amdhsa_float_round_mode_32 0
		.amdhsa_float_round_mode_16_64 0
		.amdhsa_float_denorm_mode_32 3
		.amdhsa_float_denorm_mode_16_64 3
		.amdhsa_dx10_clamp 1
		.amdhsa_ieee_mode 1
		.amdhsa_fp16_overflow 0
		.amdhsa_workgroup_processor_mode 1
		.amdhsa_memory_ordered 1
		.amdhsa_forward_progress 1
		.amdhsa_shared_vgpr_count 0
		.amdhsa_exception_fp_ieee_invalid_op 0
		.amdhsa_exception_fp_denorm_src 0
		.amdhsa_exception_fp_ieee_div_zero 0
		.amdhsa_exception_fp_ieee_overflow 0
		.amdhsa_exception_fp_ieee_underflow 0
		.amdhsa_exception_fp_ieee_inexact 0
		.amdhsa_exception_int_div_zero 0
	.end_amdhsa_kernel
	.section	.text._ZN9rocsparseL25kernel_correction_no_normILi1024ELi1E21rocsparse_complex_numIfEiiEEvT3_T2_PKS4_S6_PKS3_PKT1_21rocsparse_index_base_S6_S6_S8_PS9_SC_S6_S6_S8_SD_SC_SD_,"axG",@progbits,_ZN9rocsparseL25kernel_correction_no_normILi1024ELi1E21rocsparse_complex_numIfEiiEEvT3_T2_PKS4_S6_PKS3_PKT1_21rocsparse_index_base_S6_S6_S8_PS9_SC_S6_S6_S8_SD_SC_SD_,comdat
.Lfunc_end28:
	.size	_ZN9rocsparseL25kernel_correction_no_normILi1024ELi1E21rocsparse_complex_numIfEiiEEvT3_T2_PKS4_S6_PKS3_PKT1_21rocsparse_index_base_S6_S6_S8_PS9_SC_S6_S6_S8_SD_SC_SD_, .Lfunc_end28-_ZN9rocsparseL25kernel_correction_no_normILi1024ELi1E21rocsparse_complex_numIfEiiEEvT3_T2_PKS4_S6_PKS3_PKT1_21rocsparse_index_base_S6_S6_S8_PS9_SC_S6_S6_S8_SD_SC_SD_
                                        ; -- End function
	.set _ZN9rocsparseL25kernel_correction_no_normILi1024ELi1E21rocsparse_complex_numIfEiiEEvT3_T2_PKS4_S6_PKS3_PKT1_21rocsparse_index_base_S6_S6_S8_PS9_SC_S6_S6_S8_SD_SC_SD_.num_vgpr, 30
	.set _ZN9rocsparseL25kernel_correction_no_normILi1024ELi1E21rocsparse_complex_numIfEiiEEvT3_T2_PKS4_S6_PKS3_PKT1_21rocsparse_index_base_S6_S6_S8_PS9_SC_S6_S6_S8_SD_SC_SD_.num_agpr, 0
	.set _ZN9rocsparseL25kernel_correction_no_normILi1024ELi1E21rocsparse_complex_numIfEiiEEvT3_T2_PKS4_S6_PKS3_PKT1_21rocsparse_index_base_S6_S6_S8_PS9_SC_S6_S6_S8_SD_SC_SD_.numbered_sgpr, 47
	.set _ZN9rocsparseL25kernel_correction_no_normILi1024ELi1E21rocsparse_complex_numIfEiiEEvT3_T2_PKS4_S6_PKS3_PKT1_21rocsparse_index_base_S6_S6_S8_PS9_SC_S6_S6_S8_SD_SC_SD_.num_named_barrier, 0
	.set _ZN9rocsparseL25kernel_correction_no_normILi1024ELi1E21rocsparse_complex_numIfEiiEEvT3_T2_PKS4_S6_PKS3_PKT1_21rocsparse_index_base_S6_S6_S8_PS9_SC_S6_S6_S8_SD_SC_SD_.private_seg_size, 0
	.set _ZN9rocsparseL25kernel_correction_no_normILi1024ELi1E21rocsparse_complex_numIfEiiEEvT3_T2_PKS4_S6_PKS3_PKT1_21rocsparse_index_base_S6_S6_S8_PS9_SC_S6_S6_S8_SD_SC_SD_.uses_vcc, 1
	.set _ZN9rocsparseL25kernel_correction_no_normILi1024ELi1E21rocsparse_complex_numIfEiiEEvT3_T2_PKS4_S6_PKS3_PKT1_21rocsparse_index_base_S6_S6_S8_PS9_SC_S6_S6_S8_SD_SC_SD_.uses_flat_scratch, 0
	.set _ZN9rocsparseL25kernel_correction_no_normILi1024ELi1E21rocsparse_complex_numIfEiiEEvT3_T2_PKS4_S6_PKS3_PKT1_21rocsparse_index_base_S6_S6_S8_PS9_SC_S6_S6_S8_SD_SC_SD_.has_dyn_sized_stack, 0
	.set _ZN9rocsparseL25kernel_correction_no_normILi1024ELi1E21rocsparse_complex_numIfEiiEEvT3_T2_PKS4_S6_PKS3_PKT1_21rocsparse_index_base_S6_S6_S8_PS9_SC_S6_S6_S8_SD_SC_SD_.has_recursion, 0
	.set _ZN9rocsparseL25kernel_correction_no_normILi1024ELi1E21rocsparse_complex_numIfEiiEEvT3_T2_PKS4_S6_PKS3_PKT1_21rocsparse_index_base_S6_S6_S8_PS9_SC_S6_S6_S8_SD_SC_SD_.has_indirect_call, 0
	.section	.AMDGPU.csdata,"",@progbits
; Kernel info:
; codeLenInByte = 2364
; TotalNumSgprs: 49
; NumVgprs: 30
; ScratchSize: 0
; MemoryBound: 0
; FloatMode: 240
; IeeeMode: 1
; LDSByteSize: 0 bytes/workgroup (compile time only)
; SGPRBlocks: 0
; VGPRBlocks: 3
; NumSGPRsForWavesPerEU: 49
; NumVGPRsForWavesPerEU: 30
; Occupancy: 16
; WaveLimiterHint : 1
; COMPUTE_PGM_RSRC2:SCRATCH_EN: 0
; COMPUTE_PGM_RSRC2:USER_SGPR: 6
; COMPUTE_PGM_RSRC2:TRAP_HANDLER: 0
; COMPUTE_PGM_RSRC2:TGID_X_EN: 1
; COMPUTE_PGM_RSRC2:TGID_Y_EN: 0
; COMPUTE_PGM_RSRC2:TGID_Z_EN: 0
; COMPUTE_PGM_RSRC2:TIDIG_COMP_CNT: 0
	.section	.text._ZN9rocsparseL25kernel_correction_no_normILi1024ELi2E21rocsparse_complex_numIfEiiEEvT3_T2_PKS4_S6_PKS3_PKT1_21rocsparse_index_base_S6_S6_S8_PS9_SC_S6_S6_S8_SD_SC_SD_,"axG",@progbits,_ZN9rocsparseL25kernel_correction_no_normILi1024ELi2E21rocsparse_complex_numIfEiiEEvT3_T2_PKS4_S6_PKS3_PKT1_21rocsparse_index_base_S6_S6_S8_PS9_SC_S6_S6_S8_SD_SC_SD_,comdat
	.globl	_ZN9rocsparseL25kernel_correction_no_normILi1024ELi2E21rocsparse_complex_numIfEiiEEvT3_T2_PKS4_S6_PKS3_PKT1_21rocsparse_index_base_S6_S6_S8_PS9_SC_S6_S6_S8_SD_SC_SD_ ; -- Begin function _ZN9rocsparseL25kernel_correction_no_normILi1024ELi2E21rocsparse_complex_numIfEiiEEvT3_T2_PKS4_S6_PKS3_PKT1_21rocsparse_index_base_S6_S6_S8_PS9_SC_S6_S6_S8_SD_SC_SD_
	.p2align	8
	.type	_ZN9rocsparseL25kernel_correction_no_normILi1024ELi2E21rocsparse_complex_numIfEiiEEvT3_T2_PKS4_S6_PKS3_PKT1_21rocsparse_index_base_S6_S6_S8_PS9_SC_S6_S6_S8_SD_SC_SD_,@function
_ZN9rocsparseL25kernel_correction_no_normILi1024ELi2E21rocsparse_complex_numIfEiiEEvT3_T2_PKS4_S6_PKS3_PKT1_21rocsparse_index_base_S6_S6_S8_PS9_SC_S6_S6_S8_SD_SC_SD_: ; @_ZN9rocsparseL25kernel_correction_no_normILi1024ELi2E21rocsparse_complex_numIfEiiEEvT3_T2_PKS4_S6_PKS3_PKT1_21rocsparse_index_base_S6_S6_S8_PS9_SC_S6_S6_S8_SD_SC_SD_
; %bb.0:
	s_load_dword s3, s[4:5], 0x0
	v_lshrrev_b32_e32 v1, 1, v0
	s_lshl_b32 s33, s6, 10
	s_mov_b32 s0, exec_lo
	v_or_b32_e32 v1, s33, v1
	s_waitcnt lgkmcnt(0)
	v_cmpx_gt_i32_e64 s3, v1
	s_cbranch_execz .LBB29_51
; %bb.1:
	s_addk_i32 s33, 0x400
	v_cmp_gt_u32_e32 vcc_lo, s33, v1
	s_and_b32 exec_lo, exec_lo, vcc_lo
	s_cbranch_execz .LBB29_51
; %bb.2:
	s_clause 0x6
	s_load_dword s34, s[4:5], 0x28
	s_load_dwordx8 s[8:15], s[4:5], 0x58
	s_load_dwordx8 s[16:23], s[4:5], 0x30
	;; [unrolled: 1-line block ×3, first 2 shown]
	s_load_dword s35, s[4:5], 0x50
	s_load_dwordx2 s[6:7], s[4:5], 0x80
	s_load_dword s4, s[4:5], 0x78
	v_and_b32_e32 v0, 1, v0
	v_mov_b32_e32 v3, 0
	s_mov_b32 s5, 0
	s_waitcnt lgkmcnt(0)
	v_subrev_nc_u32_e32 v0, s34, v0
	s_branch .LBB29_4
.LBB29_3:                               ;   in Loop: Header=BB29_4 Depth=1
	s_or_b32 exec_lo, exec_lo, s36
	v_add_nc_u32_e32 v1, 0x200, v1
	v_cmp_le_u32_e32 vcc_lo, s33, v1
	s_or_b32 s5, vcc_lo, s5
	s_andn2_b32 exec_lo, exec_lo, s5
	s_cbranch_execz .LBB29_51
.LBB29_4:                               ; =>This Loop Header: Depth=1
                                        ;     Child Loop BB29_8 Depth 2
                                        ;       Child Loop BB29_12 Depth 3
                                        ;       Child Loop BB29_34 Depth 3
	;; [unrolled: 1-line block ×3, first 2 shown]
	s_mov_b32 s36, exec_lo
	v_cmpx_gt_i32_e64 s3, v1
	s_cbranch_execz .LBB29_3
; %bb.5:                                ;   in Loop: Header=BB29_4 Depth=1
	v_ashrrev_i32_e32 v2, 31, v1
	v_lshlrev_b64 v[5:6], 2, v[1:2]
	v_add_co_u32 v7, vcc_lo, s24, v5
	v_add_co_ci_u32_e64 v8, null, s25, v6, vcc_lo
	v_add_co_u32 v9, vcc_lo, s26, v5
	v_add_co_ci_u32_e64 v10, null, s27, v6, vcc_lo
	global_load_dword v2, v[7:8], off
	global_load_dword v7, v[9:10], off
	s_waitcnt vmcnt(1)
	v_add_nc_u32_e32 v4, v0, v2
	s_waitcnt vmcnt(0)
	v_subrev_nc_u32_e32 v13, s34, v7
	v_cmp_lt_i32_e32 vcc_lo, v4, v13
	s_and_b32 exec_lo, exec_lo, vcc_lo
	s_cbranch_execz .LBB29_3
; %bb.6:                                ;   in Loop: Header=BB29_4 Depth=1
	v_add_co_u32 v7, vcc_lo, s16, v5
	v_add_co_ci_u32_e64 v8, null, s17, v6, vcc_lo
	v_add_co_u32 v5, vcc_lo, s18, v5
	v_add_co_ci_u32_e64 v6, null, s19, v6, vcc_lo
	global_load_dword v2, v[7:8], off
	s_mov_b32 s37, 0
	global_load_dword v5, v[5:6], off
	s_waitcnt vmcnt(1)
	v_subrev_nc_u32_e32 v6, s35, v2
	s_waitcnt vmcnt(0)
	v_sub_nc_u32_e32 v14, v5, v2
	v_ashrrev_i32_e32 v7, 31, v6
	v_cmp_lt_i32_e64 s0, 0, v14
	v_lshlrev_b64 v[8:9], 2, v[6:7]
	v_lshlrev_b64 v[10:11], 3, v[6:7]
	v_add_co_u32 v15, vcc_lo, s20, v8
	v_add_co_ci_u32_e64 v16, null, s21, v9, vcc_lo
	v_add_co_u32 v17, vcc_lo, s22, v10
	v_add_co_ci_u32_e64 v18, null, s23, v11, vcc_lo
	s_branch .LBB29_8
.LBB29_7:                               ;   in Loop: Header=BB29_8 Depth=2
	s_or_b32 exec_lo, exec_lo, s2
	v_add_nc_u32_e32 v4, 2, v4
	v_cmp_ge_i32_e32 vcc_lo, v4, v13
	s_or_b32 s37, vcc_lo, s37
	s_andn2_b32 exec_lo, exec_lo, s37
	s_cbranch_execz .LBB29_3
.LBB29_8:                               ;   Parent Loop BB29_4 Depth=1
                                        ; =>  This Loop Header: Depth=2
                                        ;       Child Loop BB29_12 Depth 3
                                        ;       Child Loop BB29_34 Depth 3
	;; [unrolled: 1-line block ×3, first 2 shown]
	v_ashrrev_i32_e32 v5, 31, v4
	v_mov_b32_e32 v21, 0
	v_lshlrev_b64 v[7:8], 2, v[4:5]
	v_add_co_u32 v7, vcc_lo, s28, v7
	v_add_co_ci_u32_e64 v8, null, s29, v8, vcc_lo
	global_load_dword v2, v[7:8], off
	s_waitcnt vmcnt(0)
	v_subrev_nc_u32_e32 v7, s34, v2
	v_mov_b32_e32 v2, 0
	v_ashrrev_i32_e32 v8, 31, v7
	v_lshlrev_b64 v[9:10], 2, v[7:8]
	v_add_co_u32 v11, vcc_lo, s8, v9
	v_add_co_ci_u32_e64 v12, null, s9, v10, vcc_lo
	v_add_co_u32 v9, vcc_lo, s10, v9
	v_add_co_ci_u32_e64 v10, null, s11, v10, vcc_lo
	global_load_dword v11, v[11:12], off
	global_load_dword v10, v[9:10], off
	v_mov_b32_e32 v12, 0
	s_waitcnt vmcnt(1)
	v_subrev_nc_u32_e32 v9, s4, v11
	s_waitcnt vmcnt(0)
	v_sub_nc_u32_e32 v19, v10, v11
	v_mov_b32_e32 v10, v2
	s_and_saveexec_b32 s2, s0
	s_cbranch_execz .LBB29_16
; %bb.9:                                ;   in Loop: Header=BB29_8 Depth=2
	v_ashrrev_i32_e32 v10, 31, v9
	v_mov_b32_e32 v12, 0
	v_mov_b32_e32 v2, 0
	s_mov_b32 s38, 0
                                        ; implicit-def: $sgpr39
	v_lshlrev_b64 v[20:21], 2, v[9:10]
	v_lshlrev_b64 v[10:11], 3, v[9:10]
	v_add_co_u32 v20, vcc_lo, s12, v20
	v_add_co_ci_u32_e64 v22, null, s13, v21, vcc_lo
	v_add_co_u32 v23, vcc_lo, s14, v10
	v_add_co_ci_u32_e64 v24, null, s15, v11, vcc_lo
	v_mov_b32_e32 v10, 0
	v_mov_b32_e32 v21, 0
	s_branch .LBB29_12
.LBB29_10:                              ;   in Loop: Header=BB29_12 Depth=3
	s_or_b32 exec_lo, exec_lo, s1
	v_cmp_le_i32_e32 vcc_lo, v25, v26
	v_cmp_ge_i32_e64 s1, v25, v26
	v_add_co_ci_u32_e64 v2, null, 0, v2, vcc_lo
	v_add_co_ci_u32_e64 v10, null, 0, v10, s1
	s_andn2_b32 s1, s39, exec_lo
	v_cmp_ge_i32_e32 vcc_lo, v2, v14
	s_and_b32 s39, vcc_lo, exec_lo
	s_or_b32 s39, s1, s39
.LBB29_11:                              ;   in Loop: Header=BB29_12 Depth=3
	s_or_b32 exec_lo, exec_lo, s40
	s_and_b32 s1, exec_lo, s39
	s_or_b32 s38, s1, s38
	s_andn2_b32 exec_lo, exec_lo, s38
	s_cbranch_execz .LBB29_15
.LBB29_12:                              ;   Parent Loop BB29_4 Depth=1
                                        ;     Parent Loop BB29_8 Depth=2
                                        ; =>    This Inner Loop Header: Depth=3
	s_or_b32 s39, s39, exec_lo
	s_mov_b32 s40, exec_lo
	v_cmpx_lt_i32_e64 v10, v19
	s_cbranch_execz .LBB29_11
; %bb.13:                               ;   in Loop: Header=BB29_12 Depth=3
	v_mov_b32_e32 v11, v3
	v_lshlrev_b64 v[25:26], 2, v[2:3]
	s_mov_b32 s1, exec_lo
	v_lshlrev_b64 v[27:28], 2, v[10:11]
	v_add_co_u32 v25, vcc_lo, v15, v25
	v_add_co_ci_u32_e64 v26, null, v16, v26, vcc_lo
	v_add_co_u32 v27, vcc_lo, v20, v27
	v_add_co_ci_u32_e64 v28, null, v22, v28, vcc_lo
	global_load_dword v25, v[25:26], off
	global_load_dword v26, v[27:28], off
	s_waitcnt vmcnt(1)
	v_subrev_nc_u32_e32 v25, s35, v25
	s_waitcnt vmcnt(0)
	v_subrev_nc_u32_e32 v26, s4, v26
	v_cmpx_eq_u32_e64 v25, v26
	s_cbranch_execz .LBB29_10
; %bb.14:                               ;   in Loop: Header=BB29_12 Depth=3
	v_lshlrev_b64 v[27:28], 3, v[2:3]
	v_lshlrev_b64 v[29:30], 3, v[10:11]
	v_add_co_u32 v27, vcc_lo, v17, v27
	v_add_co_ci_u32_e64 v28, null, v18, v28, vcc_lo
	v_add_co_u32 v29, vcc_lo, v23, v29
	v_add_co_ci_u32_e64 v30, null, v24, v30, vcc_lo
	global_load_dwordx2 v[27:28], v[27:28], off
	global_load_dwordx2 v[29:30], v[29:30], off
	s_waitcnt vmcnt(0)
	v_fmac_f32_e32 v12, v27, v29
	v_fmac_f32_e32 v21, v28, v29
	v_fma_f32 v12, -v28, v30, v12
	v_fmac_f32_e32 v21, v27, v30
	s_branch .LBB29_10
.LBB29_15:                              ;   in Loop: Header=BB29_8 Depth=2
	s_or_b32 exec_lo, exec_lo, s38
.LBB29_16:                              ;   in Loop: Header=BB29_8 Depth=2
	s_or_b32 exec_lo, exec_lo, s2
	v_lshlrev_b64 v[22:23], 3, v[4:5]
	v_cmp_le_i32_e64 s1, v1, v7
	s_mov_b32 s2, exec_lo
	v_add_co_u32 v22, vcc_lo, s30, v22
	v_add_co_ci_u32_e64 v23, null, s31, v23, vcc_lo
	global_load_dwordx2 v[22:23], v[22:23], off
	s_waitcnt vmcnt(0)
	v_sub_f32_e32 v20, v22, v12
	v_sub_f32_e32 v5, v23, v21
	v_cmpx_gt_i32_e64 v1, v7
	s_cbranch_execz .LBB29_18
; %bb.17:                               ;   in Loop: Header=BB29_8 Depth=2
	v_lshlrev_b64 v[11:12], 3, v[7:8]
	v_add_co_u32 v11, vcc_lo, s6, v11
	v_add_co_ci_u32_e64 v12, null, s7, v12, vcc_lo
	global_load_dwordx2 v[11:12], v[11:12], off
	s_waitcnt vmcnt(0)
	v_mul_f32_e32 v21, v12, v12
	v_fmac_f32_e32 v21, v11, v11
	v_div_scale_f32 v22, null, v21, v21, 1.0
	v_div_scale_f32 v25, vcc_lo, 1.0, v21, 1.0
	v_rcp_f32_e32 v23, v22
	v_fma_f32 v24, -v22, v23, 1.0
	v_fmac_f32_e32 v23, v24, v23
	v_mul_f32_e32 v24, v25, v23
	v_fma_f32 v26, -v22, v24, v25
	v_fmac_f32_e32 v24, v26, v23
	v_fma_f32 v22, -v22, v24, v25
	v_div_fmas_f32 v22, v22, v23, v24
	v_mul_f32_e32 v23, v5, v12
	v_mul_f32_e64 v12, v12, -v20
	v_div_fixup_f32 v21, v22, v21, 1.0
	v_fmac_f32_e32 v23, v20, v11
	v_fmac_f32_e32 v12, v5, v11
	v_mul_f32_e32 v20, v23, v21
	v_mul_f32_e32 v5, v12, v21
.LBB29_18:                              ;   in Loop: Header=BB29_8 Depth=2
	s_or_b32 exec_lo, exec_lo, s2
	v_cmp_gt_f32_e32 vcc_lo, 0, v20
                                        ; implicit-def: $vgpr21
	s_mov_b32 s2, exec_lo
	v_cndmask_b32_e64 v11, v20, -v20, vcc_lo
	v_cmp_gt_f32_e32 vcc_lo, 0, v5
	v_cndmask_b32_e64 v12, v5, -v5, vcc_lo
	v_cmpx_ngt_f32_e32 v11, v12
	s_xor_b32 s38, exec_lo, s2
	s_cbranch_execnz .LBB29_21
; %bb.19:                               ;   in Loop: Header=BB29_8 Depth=2
	s_andn2_saveexec_b32 s38, s38
	s_cbranch_execnz .LBB29_24
.LBB29_20:                              ;   in Loop: Header=BB29_8 Depth=2
	s_or_b32 exec_lo, exec_lo, s38
	v_cmp_class_f32_e64 s38, v21, 0x1f8
	s_and_saveexec_b32 s2, s38
	s_cbranch_execz .LBB29_7
	s_branch .LBB29_25
.LBB29_21:                              ;   in Loop: Header=BB29_8 Depth=2
	v_mov_b32_e32 v21, 0
	s_mov_b32 s39, exec_lo
	v_cmpx_neq_f32_e32 0, v5
	s_cbranch_execz .LBB29_23
; %bb.22:                               ;   in Loop: Header=BB29_8 Depth=2
	v_div_scale_f32 v21, null, v12, v12, v11
	v_div_scale_f32 v24, vcc_lo, v11, v12, v11
	v_rcp_f32_e32 v22, v21
	v_fma_f32 v23, -v21, v22, 1.0
	v_fmac_f32_e32 v22, v23, v22
	v_mul_f32_e32 v23, v24, v22
	v_fma_f32 v25, -v21, v23, v24
	v_fmac_f32_e32 v23, v25, v22
	v_fma_f32 v21, -v21, v23, v24
	v_div_fmas_f32 v21, v21, v22, v23
	v_div_fixup_f32 v11, v21, v12, v11
	v_fma_f32 v11, v11, v11, 1.0
	v_mul_f32_e32 v21, 0x4f800000, v11
	v_cmp_gt_f32_e32 vcc_lo, 0xf800000, v11
	v_cndmask_b32_e32 v11, v11, v21, vcc_lo
	v_sqrt_f32_e32 v21, v11
	v_add_nc_u32_e32 v22, -1, v21
	v_add_nc_u32_e32 v23, 1, v21
	v_fma_f32 v24, -v22, v21, v11
	v_fma_f32 v25, -v23, v21, v11
	v_cmp_ge_f32_e64 s2, 0, v24
	v_cndmask_b32_e64 v21, v21, v22, s2
	v_cmp_lt_f32_e64 s2, 0, v25
	v_cndmask_b32_e64 v21, v21, v23, s2
	v_mul_f32_e32 v22, 0x37800000, v21
	v_cndmask_b32_e32 v21, v21, v22, vcc_lo
	v_cmp_class_f32_e64 vcc_lo, v11, 0x260
	v_cndmask_b32_e32 v11, v21, v11, vcc_lo
	v_mul_f32_e32 v21, v12, v11
.LBB29_23:                              ;   in Loop: Header=BB29_8 Depth=2
	s_or_b32 exec_lo, exec_lo, s39
                                        ; implicit-def: $vgpr11
                                        ; implicit-def: $vgpr12
	s_andn2_saveexec_b32 s38, s38
	s_cbranch_execz .LBB29_20
.LBB29_24:                              ;   in Loop: Header=BB29_8 Depth=2
	v_div_scale_f32 v21, null, v11, v11, v12
	v_div_scale_f32 v24, vcc_lo, v12, v11, v12
	v_rcp_f32_e32 v22, v21
	v_fma_f32 v23, -v21, v22, 1.0
	v_fmac_f32_e32 v22, v23, v22
	v_mul_f32_e32 v23, v24, v22
	v_fma_f32 v25, -v21, v23, v24
	v_fmac_f32_e32 v23, v25, v22
	v_fma_f32 v21, -v21, v23, v24
	v_div_fmas_f32 v21, v21, v22, v23
	v_div_fixup_f32 v12, v21, v11, v12
	v_fma_f32 v12, v12, v12, 1.0
	v_mul_f32_e32 v21, 0x4f800000, v12
	v_cmp_gt_f32_e32 vcc_lo, 0xf800000, v12
	v_cndmask_b32_e32 v12, v12, v21, vcc_lo
	v_sqrt_f32_e32 v21, v12
	v_add_nc_u32_e32 v22, -1, v21
	v_add_nc_u32_e32 v23, 1, v21
	v_fma_f32 v24, -v22, v21, v12
	v_fma_f32 v25, -v23, v21, v12
	v_cmp_ge_f32_e64 s2, 0, v24
	v_cndmask_b32_e64 v21, v21, v22, s2
	v_cmp_lt_f32_e64 s2, 0, v25
	v_cndmask_b32_e64 v21, v21, v23, s2
	v_mul_f32_e32 v22, 0x37800000, v21
	v_cndmask_b32_e32 v21, v21, v22, vcc_lo
	v_cmp_class_f32_e64 vcc_lo, v12, 0x260
	v_cndmask_b32_e32 v12, v21, v12, vcc_lo
	v_mul_f32_e32 v21, v11, v12
	s_or_b32 exec_lo, exec_lo, s38
	v_cmp_class_f32_e64 s38, v21, 0x1f8
	s_and_saveexec_b32 s2, s38
	s_cbranch_execz .LBB29_7
.LBB29_25:                              ;   in Loop: Header=BB29_8 Depth=2
	s_mov_b32 s38, 0
                                        ; implicit-def: $vgpr11_vgpr12
	s_and_saveexec_b32 s39, s1
	s_xor_b32 s1, exec_lo, s39
	s_cbranch_execnz .LBB29_28
; %bb.26:                               ;   in Loop: Header=BB29_8 Depth=2
	s_andn2_saveexec_b32 s1, s1
	s_cbranch_execnz .LBB29_41
.LBB29_27:                              ;   in Loop: Header=BB29_8 Depth=2
	s_or_b32 exec_lo, exec_lo, s1
	s_and_b32 exec_lo, exec_lo, s38
	s_cbranch_execz .LBB29_7
	s_branch .LBB29_50
.LBB29_28:                              ;   in Loop: Header=BB29_8 Depth=2
	s_mov_b32 s39, exec_lo
                                        ; implicit-def: $vgpr11_vgpr12
	v_cmpx_ge_i32_e64 v1, v7
	s_xor_b32 s39, exec_lo, s39
	s_cbranch_execz .LBB29_30
; %bb.29:                               ;   in Loop: Header=BB29_8 Depth=2
	v_lshlrev_b64 v[7:8], 3, v[7:8]
	s_mov_b32 s38, exec_lo
                                        ; implicit-def: $vgpr10
                                        ; implicit-def: $vgpr19
                                        ; implicit-def: $vgpr9
	v_add_co_u32 v11, vcc_lo, s6, v7
	v_add_co_ci_u32_e64 v12, null, s7, v8, vcc_lo
	global_store_dword v[11:12], v20, off
                                        ; implicit-def: $vgpr20
.LBB29_30:                              ;   in Loop: Header=BB29_8 Depth=2
	s_andn2_saveexec_b32 s39, s39
	s_cbranch_execz .LBB29_40
; %bb.31:                               ;   in Loop: Header=BB29_8 Depth=2
	s_mov_b32 s41, s38
	s_mov_b32 s40, exec_lo
                                        ; implicit-def: $vgpr11_vgpr12
	v_cmpx_lt_i32_e64 v10, v19
	s_cbranch_execz .LBB29_39
; %bb.32:                               ;   in Loop: Header=BB29_8 Depth=2
	s_mov_b32 s42, 0
                                        ; implicit-def: $sgpr41
                                        ; implicit-def: $sgpr44
                                        ; implicit-def: $sgpr43
	s_inst_prefetch 0x1
	s_branch .LBB29_34
	.p2align	6
.LBB29_33:                              ;   in Loop: Header=BB29_34 Depth=3
	s_or_b32 exec_lo, exec_lo, s45
	s_and_b32 s45, exec_lo, s44
	s_or_b32 s42, s45, s42
	s_andn2_b32 s41, s41, exec_lo
	s_and_b32 s45, s43, exec_lo
	s_or_b32 s41, s41, s45
	s_andn2_b32 exec_lo, exec_lo, s42
	s_cbranch_execz .LBB29_36
.LBB29_34:                              ;   Parent Loop BB29_4 Depth=1
                                        ;     Parent Loop BB29_8 Depth=2
                                        ; =>    This Inner Loop Header: Depth=3
	v_add_nc_u32_e32 v7, v9, v10
	s_or_b32 s43, s43, exec_lo
	s_or_b32 s44, s44, exec_lo
	s_mov_b32 s45, exec_lo
	v_ashrrev_i32_e32 v8, 31, v7
	v_lshlrev_b64 v[11:12], 2, v[7:8]
	v_add_co_u32 v11, vcc_lo, s12, v11
	v_add_co_ci_u32_e64 v12, null, s13, v12, vcc_lo
	global_load_dword v2, v[11:12], off
	s_waitcnt vmcnt(0)
	v_subrev_nc_u32_e32 v2, s4, v2
	v_cmpx_ne_u32_e64 v2, v1
	s_cbranch_execz .LBB29_33
; %bb.35:                               ;   in Loop: Header=BB29_34 Depth=3
	v_add_nc_u32_e32 v10, 1, v10
	s_andn2_b32 s44, s44, exec_lo
	s_andn2_b32 s43, s43, exec_lo
	v_cmp_ge_i32_e32 vcc_lo, v10, v19
	s_and_b32 s46, vcc_lo, exec_lo
	s_or_b32 s44, s44, s46
	s_branch .LBB29_33
.LBB29_36:                              ;   in Loop: Header=BB29_8 Depth=2
	s_inst_prefetch 0x2
	s_or_b32 exec_lo, exec_lo, s42
	s_mov_b32 s42, s38
                                        ; implicit-def: $vgpr11_vgpr12
	s_and_saveexec_b32 s43, s41
	s_xor_b32 s41, exec_lo, s43
	s_cbranch_execz .LBB29_38
; %bb.37:                               ;   in Loop: Header=BB29_8 Depth=2
	v_lshlrev_b64 v[7:8], 3, v[7:8]
	s_or_b32 s42, s38, exec_lo
	v_add_co_u32 v11, vcc_lo, s14, v7
	v_add_co_ci_u32_e64 v12, null, s15, v8, vcc_lo
	global_store_dword v[11:12], v20, off
.LBB29_38:                              ;   in Loop: Header=BB29_8 Depth=2
	s_or_b32 exec_lo, exec_lo, s41
	s_andn2_b32 s41, s38, exec_lo
	s_and_b32 s42, s42, exec_lo
	s_or_b32 s41, s41, s42
.LBB29_39:                              ;   in Loop: Header=BB29_8 Depth=2
	s_or_b32 exec_lo, exec_lo, s40
	s_andn2_b32 s38, s38, exec_lo
	s_and_b32 s40, s41, exec_lo
	s_or_b32 s38, s38, s40
.LBB29_40:                              ;   in Loop: Header=BB29_8 Depth=2
	s_or_b32 exec_lo, exec_lo, s39
	s_and_b32 s38, s38, exec_lo
                                        ; implicit-def: $vgpr20
                                        ; implicit-def: $vgpr7_vgpr8
	s_andn2_saveexec_b32 s1, s1
	s_cbranch_execz .LBB29_27
.LBB29_41:                              ;   in Loop: Header=BB29_8 Depth=2
	s_mov_b32 s40, s38
	s_mov_b32 s39, exec_lo
                                        ; implicit-def: $vgpr11_vgpr12
	v_cmpx_lt_i32_e64 v2, v14
	s_cbranch_execz .LBB29_49
; %bb.42:                               ;   in Loop: Header=BB29_8 Depth=2
	s_mov_b32 s41, 0
                                        ; implicit-def: $sgpr40
                                        ; implicit-def: $sgpr43
                                        ; implicit-def: $sgpr42
	s_inst_prefetch 0x1
	s_branch .LBB29_44
	.p2align	6
.LBB29_43:                              ;   in Loop: Header=BB29_44 Depth=3
	s_or_b32 exec_lo, exec_lo, s44
	s_and_b32 s44, exec_lo, s43
	s_or_b32 s41, s44, s41
	s_andn2_b32 s40, s40, exec_lo
	s_and_b32 s44, s42, exec_lo
	s_or_b32 s40, s40, s44
	s_andn2_b32 exec_lo, exec_lo, s41
	s_cbranch_execz .LBB29_46
.LBB29_44:                              ;   Parent Loop BB29_4 Depth=1
                                        ;     Parent Loop BB29_8 Depth=2
                                        ; =>    This Inner Loop Header: Depth=3
	v_add_nc_u32_e32 v8, v6, v2
	s_or_b32 s42, s42, exec_lo
	s_or_b32 s43, s43, exec_lo
	s_mov_b32 s44, exec_lo
	v_ashrrev_i32_e32 v9, 31, v8
	v_lshlrev_b64 v[10:11], 2, v[8:9]
	v_add_co_u32 v10, vcc_lo, s20, v10
	v_add_co_ci_u32_e64 v11, null, s21, v11, vcc_lo
	global_load_dword v10, v[10:11], off
	s_waitcnt vmcnt(0)
	v_subrev_nc_u32_e32 v10, s35, v10
	v_cmpx_ne_u32_e64 v10, v7
	s_cbranch_execz .LBB29_43
; %bb.45:                               ;   in Loop: Header=BB29_44 Depth=3
	v_add_nc_u32_e32 v2, 1, v2
	s_andn2_b32 s43, s43, exec_lo
	s_andn2_b32 s42, s42, exec_lo
	v_cmp_ge_i32_e32 vcc_lo, v2, v14
	s_and_b32 s45, vcc_lo, exec_lo
	s_or_b32 s43, s43, s45
	s_branch .LBB29_43
.LBB29_46:                              ;   in Loop: Header=BB29_8 Depth=2
	s_inst_prefetch 0x2
	s_or_b32 exec_lo, exec_lo, s41
	s_mov_b32 s41, s38
                                        ; implicit-def: $vgpr11_vgpr12
	s_and_saveexec_b32 s42, s40
	s_xor_b32 s40, exec_lo, s42
	s_cbranch_execz .LBB29_48
; %bb.47:                               ;   in Loop: Header=BB29_8 Depth=2
	v_lshlrev_b64 v[7:8], 3, v[8:9]
	s_or_b32 s41, s38, exec_lo
	v_add_co_u32 v11, vcc_lo, s22, v7
	v_add_co_ci_u32_e64 v12, null, s23, v8, vcc_lo
	global_store_dword v[11:12], v20, off
.LBB29_48:                              ;   in Loop: Header=BB29_8 Depth=2
	s_or_b32 exec_lo, exec_lo, s40
	s_andn2_b32 s40, s38, exec_lo
	s_and_b32 s41, s41, exec_lo
	s_or_b32 s40, s40, s41
.LBB29_49:                              ;   in Loop: Header=BB29_8 Depth=2
	s_or_b32 exec_lo, exec_lo, s39
	s_andn2_b32 s38, s38, exec_lo
	s_and_b32 s39, s40, exec_lo
	s_or_b32 s38, s38, s39
	s_or_b32 exec_lo, exec_lo, s1
	s_and_b32 exec_lo, exec_lo, s38
	s_cbranch_execz .LBB29_7
.LBB29_50:                              ;   in Loop: Header=BB29_8 Depth=2
	global_store_dword v[11:12], v5, off offset:4
	s_branch .LBB29_7
.LBB29_51:
	s_endpgm
	.section	.rodata,"a",@progbits
	.p2align	6, 0x0
	.amdhsa_kernel _ZN9rocsparseL25kernel_correction_no_normILi1024ELi2E21rocsparse_complex_numIfEiiEEvT3_T2_PKS4_S6_PKS3_PKT1_21rocsparse_index_base_S6_S6_S8_PS9_SC_S6_S6_S8_SD_SC_SD_
		.amdhsa_group_segment_fixed_size 0
		.amdhsa_private_segment_fixed_size 0
		.amdhsa_kernarg_size 136
		.amdhsa_user_sgpr_count 6
		.amdhsa_user_sgpr_private_segment_buffer 1
		.amdhsa_user_sgpr_dispatch_ptr 0
		.amdhsa_user_sgpr_queue_ptr 0
		.amdhsa_user_sgpr_kernarg_segment_ptr 1
		.amdhsa_user_sgpr_dispatch_id 0
		.amdhsa_user_sgpr_flat_scratch_init 0
		.amdhsa_user_sgpr_private_segment_size 0
		.amdhsa_wavefront_size32 1
		.amdhsa_uses_dynamic_stack 0
		.amdhsa_system_sgpr_private_segment_wavefront_offset 0
		.amdhsa_system_sgpr_workgroup_id_x 1
		.amdhsa_system_sgpr_workgroup_id_y 0
		.amdhsa_system_sgpr_workgroup_id_z 0
		.amdhsa_system_sgpr_workgroup_info 0
		.amdhsa_system_vgpr_workitem_id 0
		.amdhsa_next_free_vgpr 31
		.amdhsa_next_free_sgpr 47
		.amdhsa_reserve_vcc 1
		.amdhsa_reserve_flat_scratch 0
		.amdhsa_float_round_mode_32 0
		.amdhsa_float_round_mode_16_64 0
		.amdhsa_float_denorm_mode_32 3
		.amdhsa_float_denorm_mode_16_64 3
		.amdhsa_dx10_clamp 1
		.amdhsa_ieee_mode 1
		.amdhsa_fp16_overflow 0
		.amdhsa_workgroup_processor_mode 1
		.amdhsa_memory_ordered 1
		.amdhsa_forward_progress 1
		.amdhsa_shared_vgpr_count 0
		.amdhsa_exception_fp_ieee_invalid_op 0
		.amdhsa_exception_fp_denorm_src 0
		.amdhsa_exception_fp_ieee_div_zero 0
		.amdhsa_exception_fp_ieee_overflow 0
		.amdhsa_exception_fp_ieee_underflow 0
		.amdhsa_exception_fp_ieee_inexact 0
		.amdhsa_exception_int_div_zero 0
	.end_amdhsa_kernel
	.section	.text._ZN9rocsparseL25kernel_correction_no_normILi1024ELi2E21rocsparse_complex_numIfEiiEEvT3_T2_PKS4_S6_PKS3_PKT1_21rocsparse_index_base_S6_S6_S8_PS9_SC_S6_S6_S8_SD_SC_SD_,"axG",@progbits,_ZN9rocsparseL25kernel_correction_no_normILi1024ELi2E21rocsparse_complex_numIfEiiEEvT3_T2_PKS4_S6_PKS3_PKT1_21rocsparse_index_base_S6_S6_S8_PS9_SC_S6_S6_S8_SD_SC_SD_,comdat
.Lfunc_end29:
	.size	_ZN9rocsparseL25kernel_correction_no_normILi1024ELi2E21rocsparse_complex_numIfEiiEEvT3_T2_PKS4_S6_PKS3_PKT1_21rocsparse_index_base_S6_S6_S8_PS9_SC_S6_S6_S8_SD_SC_SD_, .Lfunc_end29-_ZN9rocsparseL25kernel_correction_no_normILi1024ELi2E21rocsparse_complex_numIfEiiEEvT3_T2_PKS4_S6_PKS3_PKT1_21rocsparse_index_base_S6_S6_S8_PS9_SC_S6_S6_S8_SD_SC_SD_
                                        ; -- End function
	.set _ZN9rocsparseL25kernel_correction_no_normILi1024ELi2E21rocsparse_complex_numIfEiiEEvT3_T2_PKS4_S6_PKS3_PKT1_21rocsparse_index_base_S6_S6_S8_PS9_SC_S6_S6_S8_SD_SC_SD_.num_vgpr, 31
	.set _ZN9rocsparseL25kernel_correction_no_normILi1024ELi2E21rocsparse_complex_numIfEiiEEvT3_T2_PKS4_S6_PKS3_PKT1_21rocsparse_index_base_S6_S6_S8_PS9_SC_S6_S6_S8_SD_SC_SD_.num_agpr, 0
	.set _ZN9rocsparseL25kernel_correction_no_normILi1024ELi2E21rocsparse_complex_numIfEiiEEvT3_T2_PKS4_S6_PKS3_PKT1_21rocsparse_index_base_S6_S6_S8_PS9_SC_S6_S6_S8_SD_SC_SD_.numbered_sgpr, 47
	.set _ZN9rocsparseL25kernel_correction_no_normILi1024ELi2E21rocsparse_complex_numIfEiiEEvT3_T2_PKS4_S6_PKS3_PKT1_21rocsparse_index_base_S6_S6_S8_PS9_SC_S6_S6_S8_SD_SC_SD_.num_named_barrier, 0
	.set _ZN9rocsparseL25kernel_correction_no_normILi1024ELi2E21rocsparse_complex_numIfEiiEEvT3_T2_PKS4_S6_PKS3_PKT1_21rocsparse_index_base_S6_S6_S8_PS9_SC_S6_S6_S8_SD_SC_SD_.private_seg_size, 0
	.set _ZN9rocsparseL25kernel_correction_no_normILi1024ELi2E21rocsparse_complex_numIfEiiEEvT3_T2_PKS4_S6_PKS3_PKT1_21rocsparse_index_base_S6_S6_S8_PS9_SC_S6_S6_S8_SD_SC_SD_.uses_vcc, 1
	.set _ZN9rocsparseL25kernel_correction_no_normILi1024ELi2E21rocsparse_complex_numIfEiiEEvT3_T2_PKS4_S6_PKS3_PKT1_21rocsparse_index_base_S6_S6_S8_PS9_SC_S6_S6_S8_SD_SC_SD_.uses_flat_scratch, 0
	.set _ZN9rocsparseL25kernel_correction_no_normILi1024ELi2E21rocsparse_complex_numIfEiiEEvT3_T2_PKS4_S6_PKS3_PKT1_21rocsparse_index_base_S6_S6_S8_PS9_SC_S6_S6_S8_SD_SC_SD_.has_dyn_sized_stack, 0
	.set _ZN9rocsparseL25kernel_correction_no_normILi1024ELi2E21rocsparse_complex_numIfEiiEEvT3_T2_PKS4_S6_PKS3_PKT1_21rocsparse_index_base_S6_S6_S8_PS9_SC_S6_S6_S8_SD_SC_SD_.has_recursion, 0
	.set _ZN9rocsparseL25kernel_correction_no_normILi1024ELi2E21rocsparse_complex_numIfEiiEEvT3_T2_PKS4_S6_PKS3_PKT1_21rocsparse_index_base_S6_S6_S8_PS9_SC_S6_S6_S8_SD_SC_SD_.has_indirect_call, 0
	.section	.AMDGPU.csdata,"",@progbits
; Kernel info:
; codeLenInByte = 2428
; TotalNumSgprs: 49
; NumVgprs: 31
; ScratchSize: 0
; MemoryBound: 0
; FloatMode: 240
; IeeeMode: 1
; LDSByteSize: 0 bytes/workgroup (compile time only)
; SGPRBlocks: 0
; VGPRBlocks: 3
; NumSGPRsForWavesPerEU: 49
; NumVGPRsForWavesPerEU: 31
; Occupancy: 16
; WaveLimiterHint : 1
; COMPUTE_PGM_RSRC2:SCRATCH_EN: 0
; COMPUTE_PGM_RSRC2:USER_SGPR: 6
; COMPUTE_PGM_RSRC2:TRAP_HANDLER: 0
; COMPUTE_PGM_RSRC2:TGID_X_EN: 1
; COMPUTE_PGM_RSRC2:TGID_Y_EN: 0
; COMPUTE_PGM_RSRC2:TGID_Z_EN: 0
; COMPUTE_PGM_RSRC2:TIDIG_COMP_CNT: 0
	.section	.text._ZN9rocsparseL25kernel_correction_no_normILi1024ELi4E21rocsparse_complex_numIfEiiEEvT3_T2_PKS4_S6_PKS3_PKT1_21rocsparse_index_base_S6_S6_S8_PS9_SC_S6_S6_S8_SD_SC_SD_,"axG",@progbits,_ZN9rocsparseL25kernel_correction_no_normILi1024ELi4E21rocsparse_complex_numIfEiiEEvT3_T2_PKS4_S6_PKS3_PKT1_21rocsparse_index_base_S6_S6_S8_PS9_SC_S6_S6_S8_SD_SC_SD_,comdat
	.globl	_ZN9rocsparseL25kernel_correction_no_normILi1024ELi4E21rocsparse_complex_numIfEiiEEvT3_T2_PKS4_S6_PKS3_PKT1_21rocsparse_index_base_S6_S6_S8_PS9_SC_S6_S6_S8_SD_SC_SD_ ; -- Begin function _ZN9rocsparseL25kernel_correction_no_normILi1024ELi4E21rocsparse_complex_numIfEiiEEvT3_T2_PKS4_S6_PKS3_PKT1_21rocsparse_index_base_S6_S6_S8_PS9_SC_S6_S6_S8_SD_SC_SD_
	.p2align	8
	.type	_ZN9rocsparseL25kernel_correction_no_normILi1024ELi4E21rocsparse_complex_numIfEiiEEvT3_T2_PKS4_S6_PKS3_PKT1_21rocsparse_index_base_S6_S6_S8_PS9_SC_S6_S6_S8_SD_SC_SD_,@function
_ZN9rocsparseL25kernel_correction_no_normILi1024ELi4E21rocsparse_complex_numIfEiiEEvT3_T2_PKS4_S6_PKS3_PKT1_21rocsparse_index_base_S6_S6_S8_PS9_SC_S6_S6_S8_SD_SC_SD_: ; @_ZN9rocsparseL25kernel_correction_no_normILi1024ELi4E21rocsparse_complex_numIfEiiEEvT3_T2_PKS4_S6_PKS3_PKT1_21rocsparse_index_base_S6_S6_S8_PS9_SC_S6_S6_S8_SD_SC_SD_
; %bb.0:
	s_load_dword s3, s[4:5], 0x0
	v_lshrrev_b32_e32 v1, 2, v0
	s_lshl_b32 s33, s6, 10
	s_mov_b32 s0, exec_lo
	v_or_b32_e32 v1, s33, v1
	s_waitcnt lgkmcnt(0)
	v_cmpx_gt_i32_e64 s3, v1
	s_cbranch_execz .LBB30_51
; %bb.1:
	s_addk_i32 s33, 0x400
	v_cmp_gt_u32_e32 vcc_lo, s33, v1
	s_and_b32 exec_lo, exec_lo, vcc_lo
	s_cbranch_execz .LBB30_51
; %bb.2:
	s_clause 0x6
	s_load_dword s34, s[4:5], 0x28
	s_load_dwordx8 s[8:15], s[4:5], 0x58
	s_load_dwordx8 s[16:23], s[4:5], 0x30
	;; [unrolled: 1-line block ×3, first 2 shown]
	s_load_dword s35, s[4:5], 0x50
	s_load_dwordx2 s[6:7], s[4:5], 0x80
	s_load_dword s4, s[4:5], 0x78
	v_and_b32_e32 v0, 3, v0
	v_mov_b32_e32 v3, 0
	s_mov_b32 s5, 0
	s_waitcnt lgkmcnt(0)
	v_subrev_nc_u32_e32 v0, s34, v0
	s_branch .LBB30_4
.LBB30_3:                               ;   in Loop: Header=BB30_4 Depth=1
	s_or_b32 exec_lo, exec_lo, s36
	v_add_nc_u32_e32 v1, 0x100, v1
	v_cmp_le_u32_e32 vcc_lo, s33, v1
	s_or_b32 s5, vcc_lo, s5
	s_andn2_b32 exec_lo, exec_lo, s5
	s_cbranch_execz .LBB30_51
.LBB30_4:                               ; =>This Loop Header: Depth=1
                                        ;     Child Loop BB30_8 Depth 2
                                        ;       Child Loop BB30_12 Depth 3
                                        ;       Child Loop BB30_34 Depth 3
	;; [unrolled: 1-line block ×3, first 2 shown]
	s_mov_b32 s36, exec_lo
	v_cmpx_gt_i32_e64 s3, v1
	s_cbranch_execz .LBB30_3
; %bb.5:                                ;   in Loop: Header=BB30_4 Depth=1
	v_ashrrev_i32_e32 v2, 31, v1
	v_lshlrev_b64 v[5:6], 2, v[1:2]
	v_add_co_u32 v7, vcc_lo, s24, v5
	v_add_co_ci_u32_e64 v8, null, s25, v6, vcc_lo
	v_add_co_u32 v9, vcc_lo, s26, v5
	v_add_co_ci_u32_e64 v10, null, s27, v6, vcc_lo
	global_load_dword v2, v[7:8], off
	global_load_dword v7, v[9:10], off
	s_waitcnt vmcnt(1)
	v_add_nc_u32_e32 v4, v0, v2
	s_waitcnt vmcnt(0)
	v_subrev_nc_u32_e32 v13, s34, v7
	v_cmp_lt_i32_e32 vcc_lo, v4, v13
	s_and_b32 exec_lo, exec_lo, vcc_lo
	s_cbranch_execz .LBB30_3
; %bb.6:                                ;   in Loop: Header=BB30_4 Depth=1
	v_add_co_u32 v7, vcc_lo, s16, v5
	v_add_co_ci_u32_e64 v8, null, s17, v6, vcc_lo
	v_add_co_u32 v5, vcc_lo, s18, v5
	v_add_co_ci_u32_e64 v6, null, s19, v6, vcc_lo
	global_load_dword v2, v[7:8], off
	s_mov_b32 s37, 0
	global_load_dword v5, v[5:6], off
	s_waitcnt vmcnt(1)
	v_subrev_nc_u32_e32 v6, s35, v2
	s_waitcnt vmcnt(0)
	v_sub_nc_u32_e32 v14, v5, v2
	v_ashrrev_i32_e32 v7, 31, v6
	v_cmp_lt_i32_e64 s0, 0, v14
	v_lshlrev_b64 v[8:9], 2, v[6:7]
	v_lshlrev_b64 v[10:11], 3, v[6:7]
	v_add_co_u32 v15, vcc_lo, s20, v8
	v_add_co_ci_u32_e64 v16, null, s21, v9, vcc_lo
	v_add_co_u32 v17, vcc_lo, s22, v10
	v_add_co_ci_u32_e64 v18, null, s23, v11, vcc_lo
	s_branch .LBB30_8
.LBB30_7:                               ;   in Loop: Header=BB30_8 Depth=2
	s_or_b32 exec_lo, exec_lo, s2
	v_add_nc_u32_e32 v4, 4, v4
	v_cmp_ge_i32_e32 vcc_lo, v4, v13
	s_or_b32 s37, vcc_lo, s37
	s_andn2_b32 exec_lo, exec_lo, s37
	s_cbranch_execz .LBB30_3
.LBB30_8:                               ;   Parent Loop BB30_4 Depth=1
                                        ; =>  This Loop Header: Depth=2
                                        ;       Child Loop BB30_12 Depth 3
                                        ;       Child Loop BB30_34 Depth 3
	;; [unrolled: 1-line block ×3, first 2 shown]
	v_ashrrev_i32_e32 v5, 31, v4
	v_mov_b32_e32 v21, 0
	v_lshlrev_b64 v[7:8], 2, v[4:5]
	v_add_co_u32 v7, vcc_lo, s28, v7
	v_add_co_ci_u32_e64 v8, null, s29, v8, vcc_lo
	global_load_dword v2, v[7:8], off
	s_waitcnt vmcnt(0)
	v_subrev_nc_u32_e32 v7, s34, v2
	v_mov_b32_e32 v2, 0
	v_ashrrev_i32_e32 v8, 31, v7
	v_lshlrev_b64 v[9:10], 2, v[7:8]
	v_add_co_u32 v11, vcc_lo, s8, v9
	v_add_co_ci_u32_e64 v12, null, s9, v10, vcc_lo
	v_add_co_u32 v9, vcc_lo, s10, v9
	v_add_co_ci_u32_e64 v10, null, s11, v10, vcc_lo
	global_load_dword v11, v[11:12], off
	global_load_dword v10, v[9:10], off
	v_mov_b32_e32 v12, 0
	s_waitcnt vmcnt(1)
	v_subrev_nc_u32_e32 v9, s4, v11
	s_waitcnt vmcnt(0)
	v_sub_nc_u32_e32 v19, v10, v11
	v_mov_b32_e32 v10, v2
	s_and_saveexec_b32 s2, s0
	s_cbranch_execz .LBB30_16
; %bb.9:                                ;   in Loop: Header=BB30_8 Depth=2
	v_ashrrev_i32_e32 v10, 31, v9
	v_mov_b32_e32 v12, 0
	v_mov_b32_e32 v2, 0
	s_mov_b32 s38, 0
                                        ; implicit-def: $sgpr39
	v_lshlrev_b64 v[20:21], 2, v[9:10]
	v_lshlrev_b64 v[10:11], 3, v[9:10]
	v_add_co_u32 v20, vcc_lo, s12, v20
	v_add_co_ci_u32_e64 v22, null, s13, v21, vcc_lo
	v_add_co_u32 v23, vcc_lo, s14, v10
	v_add_co_ci_u32_e64 v24, null, s15, v11, vcc_lo
	v_mov_b32_e32 v10, 0
	v_mov_b32_e32 v21, 0
	s_branch .LBB30_12
.LBB30_10:                              ;   in Loop: Header=BB30_12 Depth=3
	s_or_b32 exec_lo, exec_lo, s1
	v_cmp_le_i32_e32 vcc_lo, v25, v26
	v_cmp_ge_i32_e64 s1, v25, v26
	v_add_co_ci_u32_e64 v2, null, 0, v2, vcc_lo
	v_add_co_ci_u32_e64 v10, null, 0, v10, s1
	s_andn2_b32 s1, s39, exec_lo
	v_cmp_ge_i32_e32 vcc_lo, v2, v14
	s_and_b32 s39, vcc_lo, exec_lo
	s_or_b32 s39, s1, s39
.LBB30_11:                              ;   in Loop: Header=BB30_12 Depth=3
	s_or_b32 exec_lo, exec_lo, s40
	s_and_b32 s1, exec_lo, s39
	s_or_b32 s38, s1, s38
	s_andn2_b32 exec_lo, exec_lo, s38
	s_cbranch_execz .LBB30_15
.LBB30_12:                              ;   Parent Loop BB30_4 Depth=1
                                        ;     Parent Loop BB30_8 Depth=2
                                        ; =>    This Inner Loop Header: Depth=3
	s_or_b32 s39, s39, exec_lo
	s_mov_b32 s40, exec_lo
	v_cmpx_lt_i32_e64 v10, v19
	s_cbranch_execz .LBB30_11
; %bb.13:                               ;   in Loop: Header=BB30_12 Depth=3
	v_mov_b32_e32 v11, v3
	v_lshlrev_b64 v[25:26], 2, v[2:3]
	s_mov_b32 s1, exec_lo
	v_lshlrev_b64 v[27:28], 2, v[10:11]
	v_add_co_u32 v25, vcc_lo, v15, v25
	v_add_co_ci_u32_e64 v26, null, v16, v26, vcc_lo
	v_add_co_u32 v27, vcc_lo, v20, v27
	v_add_co_ci_u32_e64 v28, null, v22, v28, vcc_lo
	global_load_dword v25, v[25:26], off
	global_load_dword v26, v[27:28], off
	s_waitcnt vmcnt(1)
	v_subrev_nc_u32_e32 v25, s35, v25
	s_waitcnt vmcnt(0)
	v_subrev_nc_u32_e32 v26, s4, v26
	v_cmpx_eq_u32_e64 v25, v26
	s_cbranch_execz .LBB30_10
; %bb.14:                               ;   in Loop: Header=BB30_12 Depth=3
	v_lshlrev_b64 v[27:28], 3, v[2:3]
	v_lshlrev_b64 v[29:30], 3, v[10:11]
	v_add_co_u32 v27, vcc_lo, v17, v27
	v_add_co_ci_u32_e64 v28, null, v18, v28, vcc_lo
	v_add_co_u32 v29, vcc_lo, v23, v29
	v_add_co_ci_u32_e64 v30, null, v24, v30, vcc_lo
	global_load_dwordx2 v[27:28], v[27:28], off
	global_load_dwordx2 v[29:30], v[29:30], off
	s_waitcnt vmcnt(0)
	v_fmac_f32_e32 v12, v27, v29
	v_fmac_f32_e32 v21, v28, v29
	v_fma_f32 v12, -v28, v30, v12
	v_fmac_f32_e32 v21, v27, v30
	s_branch .LBB30_10
.LBB30_15:                              ;   in Loop: Header=BB30_8 Depth=2
	s_or_b32 exec_lo, exec_lo, s38
.LBB30_16:                              ;   in Loop: Header=BB30_8 Depth=2
	s_or_b32 exec_lo, exec_lo, s2
	v_lshlrev_b64 v[22:23], 3, v[4:5]
	v_cmp_le_i32_e64 s1, v1, v7
	s_mov_b32 s2, exec_lo
	v_add_co_u32 v22, vcc_lo, s30, v22
	v_add_co_ci_u32_e64 v23, null, s31, v23, vcc_lo
	global_load_dwordx2 v[22:23], v[22:23], off
	s_waitcnt vmcnt(0)
	v_sub_f32_e32 v20, v22, v12
	v_sub_f32_e32 v5, v23, v21
	v_cmpx_gt_i32_e64 v1, v7
	s_cbranch_execz .LBB30_18
; %bb.17:                               ;   in Loop: Header=BB30_8 Depth=2
	v_lshlrev_b64 v[11:12], 3, v[7:8]
	v_add_co_u32 v11, vcc_lo, s6, v11
	v_add_co_ci_u32_e64 v12, null, s7, v12, vcc_lo
	global_load_dwordx2 v[11:12], v[11:12], off
	s_waitcnt vmcnt(0)
	v_mul_f32_e32 v21, v12, v12
	v_fmac_f32_e32 v21, v11, v11
	v_div_scale_f32 v22, null, v21, v21, 1.0
	v_div_scale_f32 v25, vcc_lo, 1.0, v21, 1.0
	v_rcp_f32_e32 v23, v22
	v_fma_f32 v24, -v22, v23, 1.0
	v_fmac_f32_e32 v23, v24, v23
	v_mul_f32_e32 v24, v25, v23
	v_fma_f32 v26, -v22, v24, v25
	v_fmac_f32_e32 v24, v26, v23
	v_fma_f32 v22, -v22, v24, v25
	v_div_fmas_f32 v22, v22, v23, v24
	v_mul_f32_e32 v23, v5, v12
	v_mul_f32_e64 v12, v12, -v20
	v_div_fixup_f32 v21, v22, v21, 1.0
	v_fmac_f32_e32 v23, v20, v11
	v_fmac_f32_e32 v12, v5, v11
	v_mul_f32_e32 v20, v23, v21
	v_mul_f32_e32 v5, v12, v21
.LBB30_18:                              ;   in Loop: Header=BB30_8 Depth=2
	s_or_b32 exec_lo, exec_lo, s2
	v_cmp_gt_f32_e32 vcc_lo, 0, v20
                                        ; implicit-def: $vgpr21
	s_mov_b32 s2, exec_lo
	v_cndmask_b32_e64 v11, v20, -v20, vcc_lo
	v_cmp_gt_f32_e32 vcc_lo, 0, v5
	v_cndmask_b32_e64 v12, v5, -v5, vcc_lo
	v_cmpx_ngt_f32_e32 v11, v12
	s_xor_b32 s38, exec_lo, s2
	s_cbranch_execnz .LBB30_21
; %bb.19:                               ;   in Loop: Header=BB30_8 Depth=2
	s_andn2_saveexec_b32 s38, s38
	s_cbranch_execnz .LBB30_24
.LBB30_20:                              ;   in Loop: Header=BB30_8 Depth=2
	s_or_b32 exec_lo, exec_lo, s38
	v_cmp_class_f32_e64 s38, v21, 0x1f8
	s_and_saveexec_b32 s2, s38
	s_cbranch_execz .LBB30_7
	s_branch .LBB30_25
.LBB30_21:                              ;   in Loop: Header=BB30_8 Depth=2
	v_mov_b32_e32 v21, 0
	s_mov_b32 s39, exec_lo
	v_cmpx_neq_f32_e32 0, v5
	s_cbranch_execz .LBB30_23
; %bb.22:                               ;   in Loop: Header=BB30_8 Depth=2
	v_div_scale_f32 v21, null, v12, v12, v11
	v_div_scale_f32 v24, vcc_lo, v11, v12, v11
	v_rcp_f32_e32 v22, v21
	v_fma_f32 v23, -v21, v22, 1.0
	v_fmac_f32_e32 v22, v23, v22
	v_mul_f32_e32 v23, v24, v22
	v_fma_f32 v25, -v21, v23, v24
	v_fmac_f32_e32 v23, v25, v22
	v_fma_f32 v21, -v21, v23, v24
	v_div_fmas_f32 v21, v21, v22, v23
	v_div_fixup_f32 v11, v21, v12, v11
	v_fma_f32 v11, v11, v11, 1.0
	v_mul_f32_e32 v21, 0x4f800000, v11
	v_cmp_gt_f32_e32 vcc_lo, 0xf800000, v11
	v_cndmask_b32_e32 v11, v11, v21, vcc_lo
	v_sqrt_f32_e32 v21, v11
	v_add_nc_u32_e32 v22, -1, v21
	v_add_nc_u32_e32 v23, 1, v21
	v_fma_f32 v24, -v22, v21, v11
	v_fma_f32 v25, -v23, v21, v11
	v_cmp_ge_f32_e64 s2, 0, v24
	v_cndmask_b32_e64 v21, v21, v22, s2
	v_cmp_lt_f32_e64 s2, 0, v25
	v_cndmask_b32_e64 v21, v21, v23, s2
	v_mul_f32_e32 v22, 0x37800000, v21
	v_cndmask_b32_e32 v21, v21, v22, vcc_lo
	v_cmp_class_f32_e64 vcc_lo, v11, 0x260
	v_cndmask_b32_e32 v11, v21, v11, vcc_lo
	v_mul_f32_e32 v21, v12, v11
.LBB30_23:                              ;   in Loop: Header=BB30_8 Depth=2
	s_or_b32 exec_lo, exec_lo, s39
                                        ; implicit-def: $vgpr11
                                        ; implicit-def: $vgpr12
	s_andn2_saveexec_b32 s38, s38
	s_cbranch_execz .LBB30_20
.LBB30_24:                              ;   in Loop: Header=BB30_8 Depth=2
	v_div_scale_f32 v21, null, v11, v11, v12
	v_div_scale_f32 v24, vcc_lo, v12, v11, v12
	v_rcp_f32_e32 v22, v21
	v_fma_f32 v23, -v21, v22, 1.0
	v_fmac_f32_e32 v22, v23, v22
	v_mul_f32_e32 v23, v24, v22
	v_fma_f32 v25, -v21, v23, v24
	v_fmac_f32_e32 v23, v25, v22
	v_fma_f32 v21, -v21, v23, v24
	v_div_fmas_f32 v21, v21, v22, v23
	v_div_fixup_f32 v12, v21, v11, v12
	v_fma_f32 v12, v12, v12, 1.0
	v_mul_f32_e32 v21, 0x4f800000, v12
	v_cmp_gt_f32_e32 vcc_lo, 0xf800000, v12
	v_cndmask_b32_e32 v12, v12, v21, vcc_lo
	v_sqrt_f32_e32 v21, v12
	v_add_nc_u32_e32 v22, -1, v21
	v_add_nc_u32_e32 v23, 1, v21
	v_fma_f32 v24, -v22, v21, v12
	v_fma_f32 v25, -v23, v21, v12
	v_cmp_ge_f32_e64 s2, 0, v24
	v_cndmask_b32_e64 v21, v21, v22, s2
	v_cmp_lt_f32_e64 s2, 0, v25
	v_cndmask_b32_e64 v21, v21, v23, s2
	v_mul_f32_e32 v22, 0x37800000, v21
	v_cndmask_b32_e32 v21, v21, v22, vcc_lo
	v_cmp_class_f32_e64 vcc_lo, v12, 0x260
	v_cndmask_b32_e32 v12, v21, v12, vcc_lo
	v_mul_f32_e32 v21, v11, v12
	s_or_b32 exec_lo, exec_lo, s38
	v_cmp_class_f32_e64 s38, v21, 0x1f8
	s_and_saveexec_b32 s2, s38
	s_cbranch_execz .LBB30_7
.LBB30_25:                              ;   in Loop: Header=BB30_8 Depth=2
	s_mov_b32 s38, 0
                                        ; implicit-def: $vgpr11_vgpr12
	s_and_saveexec_b32 s39, s1
	s_xor_b32 s1, exec_lo, s39
	s_cbranch_execnz .LBB30_28
; %bb.26:                               ;   in Loop: Header=BB30_8 Depth=2
	s_andn2_saveexec_b32 s1, s1
	s_cbranch_execnz .LBB30_41
.LBB30_27:                              ;   in Loop: Header=BB30_8 Depth=2
	s_or_b32 exec_lo, exec_lo, s1
	s_and_b32 exec_lo, exec_lo, s38
	s_cbranch_execz .LBB30_7
	s_branch .LBB30_50
.LBB30_28:                              ;   in Loop: Header=BB30_8 Depth=2
	s_mov_b32 s39, exec_lo
                                        ; implicit-def: $vgpr11_vgpr12
	v_cmpx_ge_i32_e64 v1, v7
	s_xor_b32 s39, exec_lo, s39
	s_cbranch_execz .LBB30_30
; %bb.29:                               ;   in Loop: Header=BB30_8 Depth=2
	v_lshlrev_b64 v[7:8], 3, v[7:8]
	s_mov_b32 s38, exec_lo
                                        ; implicit-def: $vgpr10
                                        ; implicit-def: $vgpr19
                                        ; implicit-def: $vgpr9
	v_add_co_u32 v11, vcc_lo, s6, v7
	v_add_co_ci_u32_e64 v12, null, s7, v8, vcc_lo
	global_store_dword v[11:12], v20, off
                                        ; implicit-def: $vgpr20
.LBB30_30:                              ;   in Loop: Header=BB30_8 Depth=2
	s_andn2_saveexec_b32 s39, s39
	s_cbranch_execz .LBB30_40
; %bb.31:                               ;   in Loop: Header=BB30_8 Depth=2
	s_mov_b32 s41, s38
	s_mov_b32 s40, exec_lo
                                        ; implicit-def: $vgpr11_vgpr12
	v_cmpx_lt_i32_e64 v10, v19
	s_cbranch_execz .LBB30_39
; %bb.32:                               ;   in Loop: Header=BB30_8 Depth=2
	s_mov_b32 s42, 0
                                        ; implicit-def: $sgpr41
                                        ; implicit-def: $sgpr44
                                        ; implicit-def: $sgpr43
	s_inst_prefetch 0x1
	s_branch .LBB30_34
	.p2align	6
.LBB30_33:                              ;   in Loop: Header=BB30_34 Depth=3
	s_or_b32 exec_lo, exec_lo, s45
	s_and_b32 s45, exec_lo, s44
	s_or_b32 s42, s45, s42
	s_andn2_b32 s41, s41, exec_lo
	s_and_b32 s45, s43, exec_lo
	s_or_b32 s41, s41, s45
	s_andn2_b32 exec_lo, exec_lo, s42
	s_cbranch_execz .LBB30_36
.LBB30_34:                              ;   Parent Loop BB30_4 Depth=1
                                        ;     Parent Loop BB30_8 Depth=2
                                        ; =>    This Inner Loop Header: Depth=3
	v_add_nc_u32_e32 v7, v9, v10
	s_or_b32 s43, s43, exec_lo
	s_or_b32 s44, s44, exec_lo
	s_mov_b32 s45, exec_lo
	v_ashrrev_i32_e32 v8, 31, v7
	v_lshlrev_b64 v[11:12], 2, v[7:8]
	v_add_co_u32 v11, vcc_lo, s12, v11
	v_add_co_ci_u32_e64 v12, null, s13, v12, vcc_lo
	global_load_dword v2, v[11:12], off
	s_waitcnt vmcnt(0)
	v_subrev_nc_u32_e32 v2, s4, v2
	v_cmpx_ne_u32_e64 v2, v1
	s_cbranch_execz .LBB30_33
; %bb.35:                               ;   in Loop: Header=BB30_34 Depth=3
	v_add_nc_u32_e32 v10, 1, v10
	s_andn2_b32 s44, s44, exec_lo
	s_andn2_b32 s43, s43, exec_lo
	v_cmp_ge_i32_e32 vcc_lo, v10, v19
	s_and_b32 s46, vcc_lo, exec_lo
	s_or_b32 s44, s44, s46
	s_branch .LBB30_33
.LBB30_36:                              ;   in Loop: Header=BB30_8 Depth=2
	s_inst_prefetch 0x2
	s_or_b32 exec_lo, exec_lo, s42
	s_mov_b32 s42, s38
                                        ; implicit-def: $vgpr11_vgpr12
	s_and_saveexec_b32 s43, s41
	s_xor_b32 s41, exec_lo, s43
	s_cbranch_execz .LBB30_38
; %bb.37:                               ;   in Loop: Header=BB30_8 Depth=2
	v_lshlrev_b64 v[7:8], 3, v[7:8]
	s_or_b32 s42, s38, exec_lo
	v_add_co_u32 v11, vcc_lo, s14, v7
	v_add_co_ci_u32_e64 v12, null, s15, v8, vcc_lo
	global_store_dword v[11:12], v20, off
.LBB30_38:                              ;   in Loop: Header=BB30_8 Depth=2
	s_or_b32 exec_lo, exec_lo, s41
	s_andn2_b32 s41, s38, exec_lo
	s_and_b32 s42, s42, exec_lo
	s_or_b32 s41, s41, s42
.LBB30_39:                              ;   in Loop: Header=BB30_8 Depth=2
	s_or_b32 exec_lo, exec_lo, s40
	s_andn2_b32 s38, s38, exec_lo
	s_and_b32 s40, s41, exec_lo
	s_or_b32 s38, s38, s40
.LBB30_40:                              ;   in Loop: Header=BB30_8 Depth=2
	s_or_b32 exec_lo, exec_lo, s39
	s_and_b32 s38, s38, exec_lo
                                        ; implicit-def: $vgpr20
                                        ; implicit-def: $vgpr7_vgpr8
	s_andn2_saveexec_b32 s1, s1
	s_cbranch_execz .LBB30_27
.LBB30_41:                              ;   in Loop: Header=BB30_8 Depth=2
	s_mov_b32 s40, s38
	s_mov_b32 s39, exec_lo
                                        ; implicit-def: $vgpr11_vgpr12
	v_cmpx_lt_i32_e64 v2, v14
	s_cbranch_execz .LBB30_49
; %bb.42:                               ;   in Loop: Header=BB30_8 Depth=2
	s_mov_b32 s41, 0
                                        ; implicit-def: $sgpr40
                                        ; implicit-def: $sgpr43
                                        ; implicit-def: $sgpr42
	s_inst_prefetch 0x1
	s_branch .LBB30_44
	.p2align	6
.LBB30_43:                              ;   in Loop: Header=BB30_44 Depth=3
	s_or_b32 exec_lo, exec_lo, s44
	s_and_b32 s44, exec_lo, s43
	s_or_b32 s41, s44, s41
	s_andn2_b32 s40, s40, exec_lo
	s_and_b32 s44, s42, exec_lo
	s_or_b32 s40, s40, s44
	s_andn2_b32 exec_lo, exec_lo, s41
	s_cbranch_execz .LBB30_46
.LBB30_44:                              ;   Parent Loop BB30_4 Depth=1
                                        ;     Parent Loop BB30_8 Depth=2
                                        ; =>    This Inner Loop Header: Depth=3
	v_add_nc_u32_e32 v8, v6, v2
	s_or_b32 s42, s42, exec_lo
	s_or_b32 s43, s43, exec_lo
	s_mov_b32 s44, exec_lo
	v_ashrrev_i32_e32 v9, 31, v8
	v_lshlrev_b64 v[10:11], 2, v[8:9]
	v_add_co_u32 v10, vcc_lo, s20, v10
	v_add_co_ci_u32_e64 v11, null, s21, v11, vcc_lo
	global_load_dword v10, v[10:11], off
	s_waitcnt vmcnt(0)
	v_subrev_nc_u32_e32 v10, s35, v10
	v_cmpx_ne_u32_e64 v10, v7
	s_cbranch_execz .LBB30_43
; %bb.45:                               ;   in Loop: Header=BB30_44 Depth=3
	v_add_nc_u32_e32 v2, 1, v2
	s_andn2_b32 s43, s43, exec_lo
	s_andn2_b32 s42, s42, exec_lo
	v_cmp_ge_i32_e32 vcc_lo, v2, v14
	s_and_b32 s45, vcc_lo, exec_lo
	s_or_b32 s43, s43, s45
	s_branch .LBB30_43
.LBB30_46:                              ;   in Loop: Header=BB30_8 Depth=2
	s_inst_prefetch 0x2
	s_or_b32 exec_lo, exec_lo, s41
	s_mov_b32 s41, s38
                                        ; implicit-def: $vgpr11_vgpr12
	s_and_saveexec_b32 s42, s40
	s_xor_b32 s40, exec_lo, s42
	s_cbranch_execz .LBB30_48
; %bb.47:                               ;   in Loop: Header=BB30_8 Depth=2
	v_lshlrev_b64 v[7:8], 3, v[8:9]
	s_or_b32 s41, s38, exec_lo
	v_add_co_u32 v11, vcc_lo, s22, v7
	v_add_co_ci_u32_e64 v12, null, s23, v8, vcc_lo
	global_store_dword v[11:12], v20, off
.LBB30_48:                              ;   in Loop: Header=BB30_8 Depth=2
	s_or_b32 exec_lo, exec_lo, s40
	s_andn2_b32 s40, s38, exec_lo
	s_and_b32 s41, s41, exec_lo
	s_or_b32 s40, s40, s41
.LBB30_49:                              ;   in Loop: Header=BB30_8 Depth=2
	s_or_b32 exec_lo, exec_lo, s39
	s_andn2_b32 s38, s38, exec_lo
	s_and_b32 s39, s40, exec_lo
	s_or_b32 s38, s38, s39
	s_or_b32 exec_lo, exec_lo, s1
	s_and_b32 exec_lo, exec_lo, s38
	s_cbranch_execz .LBB30_7
.LBB30_50:                              ;   in Loop: Header=BB30_8 Depth=2
	global_store_dword v[11:12], v5, off offset:4
	s_branch .LBB30_7
.LBB30_51:
	s_endpgm
	.section	.rodata,"a",@progbits
	.p2align	6, 0x0
	.amdhsa_kernel _ZN9rocsparseL25kernel_correction_no_normILi1024ELi4E21rocsparse_complex_numIfEiiEEvT3_T2_PKS4_S6_PKS3_PKT1_21rocsparse_index_base_S6_S6_S8_PS9_SC_S6_S6_S8_SD_SC_SD_
		.amdhsa_group_segment_fixed_size 0
		.amdhsa_private_segment_fixed_size 0
		.amdhsa_kernarg_size 136
		.amdhsa_user_sgpr_count 6
		.amdhsa_user_sgpr_private_segment_buffer 1
		.amdhsa_user_sgpr_dispatch_ptr 0
		.amdhsa_user_sgpr_queue_ptr 0
		.amdhsa_user_sgpr_kernarg_segment_ptr 1
		.amdhsa_user_sgpr_dispatch_id 0
		.amdhsa_user_sgpr_flat_scratch_init 0
		.amdhsa_user_sgpr_private_segment_size 0
		.amdhsa_wavefront_size32 1
		.amdhsa_uses_dynamic_stack 0
		.amdhsa_system_sgpr_private_segment_wavefront_offset 0
		.amdhsa_system_sgpr_workgroup_id_x 1
		.amdhsa_system_sgpr_workgroup_id_y 0
		.amdhsa_system_sgpr_workgroup_id_z 0
		.amdhsa_system_sgpr_workgroup_info 0
		.amdhsa_system_vgpr_workitem_id 0
		.amdhsa_next_free_vgpr 31
		.amdhsa_next_free_sgpr 47
		.amdhsa_reserve_vcc 1
		.amdhsa_reserve_flat_scratch 0
		.amdhsa_float_round_mode_32 0
		.amdhsa_float_round_mode_16_64 0
		.amdhsa_float_denorm_mode_32 3
		.amdhsa_float_denorm_mode_16_64 3
		.amdhsa_dx10_clamp 1
		.amdhsa_ieee_mode 1
		.amdhsa_fp16_overflow 0
		.amdhsa_workgroup_processor_mode 1
		.amdhsa_memory_ordered 1
		.amdhsa_forward_progress 1
		.amdhsa_shared_vgpr_count 0
		.amdhsa_exception_fp_ieee_invalid_op 0
		.amdhsa_exception_fp_denorm_src 0
		.amdhsa_exception_fp_ieee_div_zero 0
		.amdhsa_exception_fp_ieee_overflow 0
		.amdhsa_exception_fp_ieee_underflow 0
		.amdhsa_exception_fp_ieee_inexact 0
		.amdhsa_exception_int_div_zero 0
	.end_amdhsa_kernel
	.section	.text._ZN9rocsparseL25kernel_correction_no_normILi1024ELi4E21rocsparse_complex_numIfEiiEEvT3_T2_PKS4_S6_PKS3_PKT1_21rocsparse_index_base_S6_S6_S8_PS9_SC_S6_S6_S8_SD_SC_SD_,"axG",@progbits,_ZN9rocsparseL25kernel_correction_no_normILi1024ELi4E21rocsparse_complex_numIfEiiEEvT3_T2_PKS4_S6_PKS3_PKT1_21rocsparse_index_base_S6_S6_S8_PS9_SC_S6_S6_S8_SD_SC_SD_,comdat
.Lfunc_end30:
	.size	_ZN9rocsparseL25kernel_correction_no_normILi1024ELi4E21rocsparse_complex_numIfEiiEEvT3_T2_PKS4_S6_PKS3_PKT1_21rocsparse_index_base_S6_S6_S8_PS9_SC_S6_S6_S8_SD_SC_SD_, .Lfunc_end30-_ZN9rocsparseL25kernel_correction_no_normILi1024ELi4E21rocsparse_complex_numIfEiiEEvT3_T2_PKS4_S6_PKS3_PKT1_21rocsparse_index_base_S6_S6_S8_PS9_SC_S6_S6_S8_SD_SC_SD_
                                        ; -- End function
	.set _ZN9rocsparseL25kernel_correction_no_normILi1024ELi4E21rocsparse_complex_numIfEiiEEvT3_T2_PKS4_S6_PKS3_PKT1_21rocsparse_index_base_S6_S6_S8_PS9_SC_S6_S6_S8_SD_SC_SD_.num_vgpr, 31
	.set _ZN9rocsparseL25kernel_correction_no_normILi1024ELi4E21rocsparse_complex_numIfEiiEEvT3_T2_PKS4_S6_PKS3_PKT1_21rocsparse_index_base_S6_S6_S8_PS9_SC_S6_S6_S8_SD_SC_SD_.num_agpr, 0
	.set _ZN9rocsparseL25kernel_correction_no_normILi1024ELi4E21rocsparse_complex_numIfEiiEEvT3_T2_PKS4_S6_PKS3_PKT1_21rocsparse_index_base_S6_S6_S8_PS9_SC_S6_S6_S8_SD_SC_SD_.numbered_sgpr, 47
	.set _ZN9rocsparseL25kernel_correction_no_normILi1024ELi4E21rocsparse_complex_numIfEiiEEvT3_T2_PKS4_S6_PKS3_PKT1_21rocsparse_index_base_S6_S6_S8_PS9_SC_S6_S6_S8_SD_SC_SD_.num_named_barrier, 0
	.set _ZN9rocsparseL25kernel_correction_no_normILi1024ELi4E21rocsparse_complex_numIfEiiEEvT3_T2_PKS4_S6_PKS3_PKT1_21rocsparse_index_base_S6_S6_S8_PS9_SC_S6_S6_S8_SD_SC_SD_.private_seg_size, 0
	.set _ZN9rocsparseL25kernel_correction_no_normILi1024ELi4E21rocsparse_complex_numIfEiiEEvT3_T2_PKS4_S6_PKS3_PKT1_21rocsparse_index_base_S6_S6_S8_PS9_SC_S6_S6_S8_SD_SC_SD_.uses_vcc, 1
	.set _ZN9rocsparseL25kernel_correction_no_normILi1024ELi4E21rocsparse_complex_numIfEiiEEvT3_T2_PKS4_S6_PKS3_PKT1_21rocsparse_index_base_S6_S6_S8_PS9_SC_S6_S6_S8_SD_SC_SD_.uses_flat_scratch, 0
	.set _ZN9rocsparseL25kernel_correction_no_normILi1024ELi4E21rocsparse_complex_numIfEiiEEvT3_T2_PKS4_S6_PKS3_PKT1_21rocsparse_index_base_S6_S6_S8_PS9_SC_S6_S6_S8_SD_SC_SD_.has_dyn_sized_stack, 0
	.set _ZN9rocsparseL25kernel_correction_no_normILi1024ELi4E21rocsparse_complex_numIfEiiEEvT3_T2_PKS4_S6_PKS3_PKT1_21rocsparse_index_base_S6_S6_S8_PS9_SC_S6_S6_S8_SD_SC_SD_.has_recursion, 0
	.set _ZN9rocsparseL25kernel_correction_no_normILi1024ELi4E21rocsparse_complex_numIfEiiEEvT3_T2_PKS4_S6_PKS3_PKT1_21rocsparse_index_base_S6_S6_S8_PS9_SC_S6_S6_S8_SD_SC_SD_.has_indirect_call, 0
	.section	.AMDGPU.csdata,"",@progbits
; Kernel info:
; codeLenInByte = 2428
; TotalNumSgprs: 49
; NumVgprs: 31
; ScratchSize: 0
; MemoryBound: 0
; FloatMode: 240
; IeeeMode: 1
; LDSByteSize: 0 bytes/workgroup (compile time only)
; SGPRBlocks: 0
; VGPRBlocks: 3
; NumSGPRsForWavesPerEU: 49
; NumVGPRsForWavesPerEU: 31
; Occupancy: 16
; WaveLimiterHint : 1
; COMPUTE_PGM_RSRC2:SCRATCH_EN: 0
; COMPUTE_PGM_RSRC2:USER_SGPR: 6
; COMPUTE_PGM_RSRC2:TRAP_HANDLER: 0
; COMPUTE_PGM_RSRC2:TGID_X_EN: 1
; COMPUTE_PGM_RSRC2:TGID_Y_EN: 0
; COMPUTE_PGM_RSRC2:TGID_Z_EN: 0
; COMPUTE_PGM_RSRC2:TIDIG_COMP_CNT: 0
	.section	.text._ZN9rocsparseL25kernel_correction_no_normILi1024ELi8E21rocsparse_complex_numIfEiiEEvT3_T2_PKS4_S6_PKS3_PKT1_21rocsparse_index_base_S6_S6_S8_PS9_SC_S6_S6_S8_SD_SC_SD_,"axG",@progbits,_ZN9rocsparseL25kernel_correction_no_normILi1024ELi8E21rocsparse_complex_numIfEiiEEvT3_T2_PKS4_S6_PKS3_PKT1_21rocsparse_index_base_S6_S6_S8_PS9_SC_S6_S6_S8_SD_SC_SD_,comdat
	.globl	_ZN9rocsparseL25kernel_correction_no_normILi1024ELi8E21rocsparse_complex_numIfEiiEEvT3_T2_PKS4_S6_PKS3_PKT1_21rocsparse_index_base_S6_S6_S8_PS9_SC_S6_S6_S8_SD_SC_SD_ ; -- Begin function _ZN9rocsparseL25kernel_correction_no_normILi1024ELi8E21rocsparse_complex_numIfEiiEEvT3_T2_PKS4_S6_PKS3_PKT1_21rocsparse_index_base_S6_S6_S8_PS9_SC_S6_S6_S8_SD_SC_SD_
	.p2align	8
	.type	_ZN9rocsparseL25kernel_correction_no_normILi1024ELi8E21rocsparse_complex_numIfEiiEEvT3_T2_PKS4_S6_PKS3_PKT1_21rocsparse_index_base_S6_S6_S8_PS9_SC_S6_S6_S8_SD_SC_SD_,@function
_ZN9rocsparseL25kernel_correction_no_normILi1024ELi8E21rocsparse_complex_numIfEiiEEvT3_T2_PKS4_S6_PKS3_PKT1_21rocsparse_index_base_S6_S6_S8_PS9_SC_S6_S6_S8_SD_SC_SD_: ; @_ZN9rocsparseL25kernel_correction_no_normILi1024ELi8E21rocsparse_complex_numIfEiiEEvT3_T2_PKS4_S6_PKS3_PKT1_21rocsparse_index_base_S6_S6_S8_PS9_SC_S6_S6_S8_SD_SC_SD_
; %bb.0:
	s_load_dword s3, s[4:5], 0x0
	v_lshrrev_b32_e32 v1, 3, v0
	s_lshl_b32 s33, s6, 10
	s_mov_b32 s0, exec_lo
	v_or_b32_e32 v1, s33, v1
	s_waitcnt lgkmcnt(0)
	v_cmpx_gt_i32_e64 s3, v1
	s_cbranch_execz .LBB31_51
; %bb.1:
	s_addk_i32 s33, 0x400
	v_cmp_gt_u32_e32 vcc_lo, s33, v1
	s_and_b32 exec_lo, exec_lo, vcc_lo
	s_cbranch_execz .LBB31_51
; %bb.2:
	s_clause 0x6
	s_load_dword s34, s[4:5], 0x28
	s_load_dwordx8 s[8:15], s[4:5], 0x58
	s_load_dwordx8 s[16:23], s[4:5], 0x30
	s_load_dwordx8 s[24:31], s[4:5], 0x8
	s_load_dword s35, s[4:5], 0x50
	s_load_dwordx2 s[6:7], s[4:5], 0x80
	s_load_dword s4, s[4:5], 0x78
	v_and_b32_e32 v0, 7, v0
	v_mov_b32_e32 v3, 0
	s_mov_b32 s5, 0
	s_waitcnt lgkmcnt(0)
	v_subrev_nc_u32_e32 v0, s34, v0
	s_branch .LBB31_4
.LBB31_3:                               ;   in Loop: Header=BB31_4 Depth=1
	s_or_b32 exec_lo, exec_lo, s36
	v_add_nc_u32_e32 v1, 0x80, v1
	v_cmp_le_u32_e32 vcc_lo, s33, v1
	s_or_b32 s5, vcc_lo, s5
	s_andn2_b32 exec_lo, exec_lo, s5
	s_cbranch_execz .LBB31_51
.LBB31_4:                               ; =>This Loop Header: Depth=1
                                        ;     Child Loop BB31_8 Depth 2
                                        ;       Child Loop BB31_12 Depth 3
                                        ;       Child Loop BB31_34 Depth 3
	;; [unrolled: 1-line block ×3, first 2 shown]
	s_mov_b32 s36, exec_lo
	v_cmpx_gt_i32_e64 s3, v1
	s_cbranch_execz .LBB31_3
; %bb.5:                                ;   in Loop: Header=BB31_4 Depth=1
	v_ashrrev_i32_e32 v2, 31, v1
	v_lshlrev_b64 v[5:6], 2, v[1:2]
	v_add_co_u32 v7, vcc_lo, s24, v5
	v_add_co_ci_u32_e64 v8, null, s25, v6, vcc_lo
	v_add_co_u32 v9, vcc_lo, s26, v5
	v_add_co_ci_u32_e64 v10, null, s27, v6, vcc_lo
	global_load_dword v2, v[7:8], off
	global_load_dword v7, v[9:10], off
	s_waitcnt vmcnt(1)
	v_add_nc_u32_e32 v4, v0, v2
	s_waitcnt vmcnt(0)
	v_subrev_nc_u32_e32 v13, s34, v7
	v_cmp_lt_i32_e32 vcc_lo, v4, v13
	s_and_b32 exec_lo, exec_lo, vcc_lo
	s_cbranch_execz .LBB31_3
; %bb.6:                                ;   in Loop: Header=BB31_4 Depth=1
	v_add_co_u32 v7, vcc_lo, s16, v5
	v_add_co_ci_u32_e64 v8, null, s17, v6, vcc_lo
	v_add_co_u32 v5, vcc_lo, s18, v5
	v_add_co_ci_u32_e64 v6, null, s19, v6, vcc_lo
	global_load_dword v2, v[7:8], off
	s_mov_b32 s37, 0
	global_load_dword v5, v[5:6], off
	s_waitcnt vmcnt(1)
	v_subrev_nc_u32_e32 v6, s35, v2
	s_waitcnt vmcnt(0)
	v_sub_nc_u32_e32 v14, v5, v2
	v_ashrrev_i32_e32 v7, 31, v6
	v_cmp_lt_i32_e64 s0, 0, v14
	v_lshlrev_b64 v[8:9], 2, v[6:7]
	v_lshlrev_b64 v[10:11], 3, v[6:7]
	v_add_co_u32 v15, vcc_lo, s20, v8
	v_add_co_ci_u32_e64 v16, null, s21, v9, vcc_lo
	v_add_co_u32 v17, vcc_lo, s22, v10
	v_add_co_ci_u32_e64 v18, null, s23, v11, vcc_lo
	s_branch .LBB31_8
.LBB31_7:                               ;   in Loop: Header=BB31_8 Depth=2
	s_or_b32 exec_lo, exec_lo, s2
	v_add_nc_u32_e32 v4, 8, v4
	v_cmp_ge_i32_e32 vcc_lo, v4, v13
	s_or_b32 s37, vcc_lo, s37
	s_andn2_b32 exec_lo, exec_lo, s37
	s_cbranch_execz .LBB31_3
.LBB31_8:                               ;   Parent Loop BB31_4 Depth=1
                                        ; =>  This Loop Header: Depth=2
                                        ;       Child Loop BB31_12 Depth 3
                                        ;       Child Loop BB31_34 Depth 3
	;; [unrolled: 1-line block ×3, first 2 shown]
	v_ashrrev_i32_e32 v5, 31, v4
	v_mov_b32_e32 v21, 0
	v_lshlrev_b64 v[7:8], 2, v[4:5]
	v_add_co_u32 v7, vcc_lo, s28, v7
	v_add_co_ci_u32_e64 v8, null, s29, v8, vcc_lo
	global_load_dword v2, v[7:8], off
	s_waitcnt vmcnt(0)
	v_subrev_nc_u32_e32 v7, s34, v2
	v_mov_b32_e32 v2, 0
	v_ashrrev_i32_e32 v8, 31, v7
	v_lshlrev_b64 v[9:10], 2, v[7:8]
	v_add_co_u32 v11, vcc_lo, s8, v9
	v_add_co_ci_u32_e64 v12, null, s9, v10, vcc_lo
	v_add_co_u32 v9, vcc_lo, s10, v9
	v_add_co_ci_u32_e64 v10, null, s11, v10, vcc_lo
	global_load_dword v11, v[11:12], off
	global_load_dword v10, v[9:10], off
	v_mov_b32_e32 v12, 0
	s_waitcnt vmcnt(1)
	v_subrev_nc_u32_e32 v9, s4, v11
	s_waitcnt vmcnt(0)
	v_sub_nc_u32_e32 v19, v10, v11
	v_mov_b32_e32 v10, v2
	s_and_saveexec_b32 s2, s0
	s_cbranch_execz .LBB31_16
; %bb.9:                                ;   in Loop: Header=BB31_8 Depth=2
	v_ashrrev_i32_e32 v10, 31, v9
	v_mov_b32_e32 v12, 0
	v_mov_b32_e32 v2, 0
	s_mov_b32 s38, 0
                                        ; implicit-def: $sgpr39
	v_lshlrev_b64 v[20:21], 2, v[9:10]
	v_lshlrev_b64 v[10:11], 3, v[9:10]
	v_add_co_u32 v20, vcc_lo, s12, v20
	v_add_co_ci_u32_e64 v22, null, s13, v21, vcc_lo
	v_add_co_u32 v23, vcc_lo, s14, v10
	v_add_co_ci_u32_e64 v24, null, s15, v11, vcc_lo
	v_mov_b32_e32 v10, 0
	v_mov_b32_e32 v21, 0
	s_branch .LBB31_12
.LBB31_10:                              ;   in Loop: Header=BB31_12 Depth=3
	s_or_b32 exec_lo, exec_lo, s1
	v_cmp_le_i32_e32 vcc_lo, v25, v26
	v_cmp_ge_i32_e64 s1, v25, v26
	v_add_co_ci_u32_e64 v2, null, 0, v2, vcc_lo
	v_add_co_ci_u32_e64 v10, null, 0, v10, s1
	s_andn2_b32 s1, s39, exec_lo
	v_cmp_ge_i32_e32 vcc_lo, v2, v14
	s_and_b32 s39, vcc_lo, exec_lo
	s_or_b32 s39, s1, s39
.LBB31_11:                              ;   in Loop: Header=BB31_12 Depth=3
	s_or_b32 exec_lo, exec_lo, s40
	s_and_b32 s1, exec_lo, s39
	s_or_b32 s38, s1, s38
	s_andn2_b32 exec_lo, exec_lo, s38
	s_cbranch_execz .LBB31_15
.LBB31_12:                              ;   Parent Loop BB31_4 Depth=1
                                        ;     Parent Loop BB31_8 Depth=2
                                        ; =>    This Inner Loop Header: Depth=3
	s_or_b32 s39, s39, exec_lo
	s_mov_b32 s40, exec_lo
	v_cmpx_lt_i32_e64 v10, v19
	s_cbranch_execz .LBB31_11
; %bb.13:                               ;   in Loop: Header=BB31_12 Depth=3
	v_mov_b32_e32 v11, v3
	v_lshlrev_b64 v[25:26], 2, v[2:3]
	s_mov_b32 s1, exec_lo
	v_lshlrev_b64 v[27:28], 2, v[10:11]
	v_add_co_u32 v25, vcc_lo, v15, v25
	v_add_co_ci_u32_e64 v26, null, v16, v26, vcc_lo
	v_add_co_u32 v27, vcc_lo, v20, v27
	v_add_co_ci_u32_e64 v28, null, v22, v28, vcc_lo
	global_load_dword v25, v[25:26], off
	global_load_dword v26, v[27:28], off
	s_waitcnt vmcnt(1)
	v_subrev_nc_u32_e32 v25, s35, v25
	s_waitcnt vmcnt(0)
	v_subrev_nc_u32_e32 v26, s4, v26
	v_cmpx_eq_u32_e64 v25, v26
	s_cbranch_execz .LBB31_10
; %bb.14:                               ;   in Loop: Header=BB31_12 Depth=3
	v_lshlrev_b64 v[27:28], 3, v[2:3]
	v_lshlrev_b64 v[29:30], 3, v[10:11]
	v_add_co_u32 v27, vcc_lo, v17, v27
	v_add_co_ci_u32_e64 v28, null, v18, v28, vcc_lo
	v_add_co_u32 v29, vcc_lo, v23, v29
	v_add_co_ci_u32_e64 v30, null, v24, v30, vcc_lo
	global_load_dwordx2 v[27:28], v[27:28], off
	global_load_dwordx2 v[29:30], v[29:30], off
	s_waitcnt vmcnt(0)
	v_fmac_f32_e32 v12, v27, v29
	v_fmac_f32_e32 v21, v28, v29
	v_fma_f32 v12, -v28, v30, v12
	v_fmac_f32_e32 v21, v27, v30
	s_branch .LBB31_10
.LBB31_15:                              ;   in Loop: Header=BB31_8 Depth=2
	s_or_b32 exec_lo, exec_lo, s38
.LBB31_16:                              ;   in Loop: Header=BB31_8 Depth=2
	s_or_b32 exec_lo, exec_lo, s2
	v_lshlrev_b64 v[22:23], 3, v[4:5]
	v_cmp_le_i32_e64 s1, v1, v7
	s_mov_b32 s2, exec_lo
	v_add_co_u32 v22, vcc_lo, s30, v22
	v_add_co_ci_u32_e64 v23, null, s31, v23, vcc_lo
	global_load_dwordx2 v[22:23], v[22:23], off
	s_waitcnt vmcnt(0)
	v_sub_f32_e32 v20, v22, v12
	v_sub_f32_e32 v5, v23, v21
	v_cmpx_gt_i32_e64 v1, v7
	s_cbranch_execz .LBB31_18
; %bb.17:                               ;   in Loop: Header=BB31_8 Depth=2
	v_lshlrev_b64 v[11:12], 3, v[7:8]
	v_add_co_u32 v11, vcc_lo, s6, v11
	v_add_co_ci_u32_e64 v12, null, s7, v12, vcc_lo
	global_load_dwordx2 v[11:12], v[11:12], off
	s_waitcnt vmcnt(0)
	v_mul_f32_e32 v21, v12, v12
	v_fmac_f32_e32 v21, v11, v11
	v_div_scale_f32 v22, null, v21, v21, 1.0
	v_div_scale_f32 v25, vcc_lo, 1.0, v21, 1.0
	v_rcp_f32_e32 v23, v22
	v_fma_f32 v24, -v22, v23, 1.0
	v_fmac_f32_e32 v23, v24, v23
	v_mul_f32_e32 v24, v25, v23
	v_fma_f32 v26, -v22, v24, v25
	v_fmac_f32_e32 v24, v26, v23
	v_fma_f32 v22, -v22, v24, v25
	v_div_fmas_f32 v22, v22, v23, v24
	v_mul_f32_e32 v23, v5, v12
	v_mul_f32_e64 v12, v12, -v20
	v_div_fixup_f32 v21, v22, v21, 1.0
	v_fmac_f32_e32 v23, v20, v11
	v_fmac_f32_e32 v12, v5, v11
	v_mul_f32_e32 v20, v23, v21
	v_mul_f32_e32 v5, v12, v21
.LBB31_18:                              ;   in Loop: Header=BB31_8 Depth=2
	s_or_b32 exec_lo, exec_lo, s2
	v_cmp_gt_f32_e32 vcc_lo, 0, v20
                                        ; implicit-def: $vgpr21
	s_mov_b32 s2, exec_lo
	v_cndmask_b32_e64 v11, v20, -v20, vcc_lo
	v_cmp_gt_f32_e32 vcc_lo, 0, v5
	v_cndmask_b32_e64 v12, v5, -v5, vcc_lo
	v_cmpx_ngt_f32_e32 v11, v12
	s_xor_b32 s38, exec_lo, s2
	s_cbranch_execnz .LBB31_21
; %bb.19:                               ;   in Loop: Header=BB31_8 Depth=2
	s_andn2_saveexec_b32 s38, s38
	s_cbranch_execnz .LBB31_24
.LBB31_20:                              ;   in Loop: Header=BB31_8 Depth=2
	s_or_b32 exec_lo, exec_lo, s38
	v_cmp_class_f32_e64 s38, v21, 0x1f8
	s_and_saveexec_b32 s2, s38
	s_cbranch_execz .LBB31_7
	s_branch .LBB31_25
.LBB31_21:                              ;   in Loop: Header=BB31_8 Depth=2
	v_mov_b32_e32 v21, 0
	s_mov_b32 s39, exec_lo
	v_cmpx_neq_f32_e32 0, v5
	s_cbranch_execz .LBB31_23
; %bb.22:                               ;   in Loop: Header=BB31_8 Depth=2
	v_div_scale_f32 v21, null, v12, v12, v11
	v_div_scale_f32 v24, vcc_lo, v11, v12, v11
	v_rcp_f32_e32 v22, v21
	v_fma_f32 v23, -v21, v22, 1.0
	v_fmac_f32_e32 v22, v23, v22
	v_mul_f32_e32 v23, v24, v22
	v_fma_f32 v25, -v21, v23, v24
	v_fmac_f32_e32 v23, v25, v22
	v_fma_f32 v21, -v21, v23, v24
	v_div_fmas_f32 v21, v21, v22, v23
	v_div_fixup_f32 v11, v21, v12, v11
	v_fma_f32 v11, v11, v11, 1.0
	v_mul_f32_e32 v21, 0x4f800000, v11
	v_cmp_gt_f32_e32 vcc_lo, 0xf800000, v11
	v_cndmask_b32_e32 v11, v11, v21, vcc_lo
	v_sqrt_f32_e32 v21, v11
	v_add_nc_u32_e32 v22, -1, v21
	v_add_nc_u32_e32 v23, 1, v21
	v_fma_f32 v24, -v22, v21, v11
	v_fma_f32 v25, -v23, v21, v11
	v_cmp_ge_f32_e64 s2, 0, v24
	v_cndmask_b32_e64 v21, v21, v22, s2
	v_cmp_lt_f32_e64 s2, 0, v25
	v_cndmask_b32_e64 v21, v21, v23, s2
	v_mul_f32_e32 v22, 0x37800000, v21
	v_cndmask_b32_e32 v21, v21, v22, vcc_lo
	v_cmp_class_f32_e64 vcc_lo, v11, 0x260
	v_cndmask_b32_e32 v11, v21, v11, vcc_lo
	v_mul_f32_e32 v21, v12, v11
.LBB31_23:                              ;   in Loop: Header=BB31_8 Depth=2
	s_or_b32 exec_lo, exec_lo, s39
                                        ; implicit-def: $vgpr11
                                        ; implicit-def: $vgpr12
	s_andn2_saveexec_b32 s38, s38
	s_cbranch_execz .LBB31_20
.LBB31_24:                              ;   in Loop: Header=BB31_8 Depth=2
	v_div_scale_f32 v21, null, v11, v11, v12
	v_div_scale_f32 v24, vcc_lo, v12, v11, v12
	v_rcp_f32_e32 v22, v21
	v_fma_f32 v23, -v21, v22, 1.0
	v_fmac_f32_e32 v22, v23, v22
	v_mul_f32_e32 v23, v24, v22
	v_fma_f32 v25, -v21, v23, v24
	v_fmac_f32_e32 v23, v25, v22
	v_fma_f32 v21, -v21, v23, v24
	v_div_fmas_f32 v21, v21, v22, v23
	v_div_fixup_f32 v12, v21, v11, v12
	v_fma_f32 v12, v12, v12, 1.0
	v_mul_f32_e32 v21, 0x4f800000, v12
	v_cmp_gt_f32_e32 vcc_lo, 0xf800000, v12
	v_cndmask_b32_e32 v12, v12, v21, vcc_lo
	v_sqrt_f32_e32 v21, v12
	v_add_nc_u32_e32 v22, -1, v21
	v_add_nc_u32_e32 v23, 1, v21
	v_fma_f32 v24, -v22, v21, v12
	v_fma_f32 v25, -v23, v21, v12
	v_cmp_ge_f32_e64 s2, 0, v24
	v_cndmask_b32_e64 v21, v21, v22, s2
	v_cmp_lt_f32_e64 s2, 0, v25
	v_cndmask_b32_e64 v21, v21, v23, s2
	v_mul_f32_e32 v22, 0x37800000, v21
	v_cndmask_b32_e32 v21, v21, v22, vcc_lo
	v_cmp_class_f32_e64 vcc_lo, v12, 0x260
	v_cndmask_b32_e32 v12, v21, v12, vcc_lo
	v_mul_f32_e32 v21, v11, v12
	s_or_b32 exec_lo, exec_lo, s38
	v_cmp_class_f32_e64 s38, v21, 0x1f8
	s_and_saveexec_b32 s2, s38
	s_cbranch_execz .LBB31_7
.LBB31_25:                              ;   in Loop: Header=BB31_8 Depth=2
	s_mov_b32 s38, 0
                                        ; implicit-def: $vgpr11_vgpr12
	s_and_saveexec_b32 s39, s1
	s_xor_b32 s1, exec_lo, s39
	s_cbranch_execnz .LBB31_28
; %bb.26:                               ;   in Loop: Header=BB31_8 Depth=2
	s_andn2_saveexec_b32 s1, s1
	s_cbranch_execnz .LBB31_41
.LBB31_27:                              ;   in Loop: Header=BB31_8 Depth=2
	s_or_b32 exec_lo, exec_lo, s1
	s_and_b32 exec_lo, exec_lo, s38
	s_cbranch_execz .LBB31_7
	s_branch .LBB31_50
.LBB31_28:                              ;   in Loop: Header=BB31_8 Depth=2
	s_mov_b32 s39, exec_lo
                                        ; implicit-def: $vgpr11_vgpr12
	v_cmpx_ge_i32_e64 v1, v7
	s_xor_b32 s39, exec_lo, s39
	s_cbranch_execz .LBB31_30
; %bb.29:                               ;   in Loop: Header=BB31_8 Depth=2
	v_lshlrev_b64 v[7:8], 3, v[7:8]
	s_mov_b32 s38, exec_lo
                                        ; implicit-def: $vgpr10
                                        ; implicit-def: $vgpr19
                                        ; implicit-def: $vgpr9
	v_add_co_u32 v11, vcc_lo, s6, v7
	v_add_co_ci_u32_e64 v12, null, s7, v8, vcc_lo
	global_store_dword v[11:12], v20, off
                                        ; implicit-def: $vgpr20
.LBB31_30:                              ;   in Loop: Header=BB31_8 Depth=2
	s_andn2_saveexec_b32 s39, s39
	s_cbranch_execz .LBB31_40
; %bb.31:                               ;   in Loop: Header=BB31_8 Depth=2
	s_mov_b32 s41, s38
	s_mov_b32 s40, exec_lo
                                        ; implicit-def: $vgpr11_vgpr12
	v_cmpx_lt_i32_e64 v10, v19
	s_cbranch_execz .LBB31_39
; %bb.32:                               ;   in Loop: Header=BB31_8 Depth=2
	s_mov_b32 s42, 0
                                        ; implicit-def: $sgpr41
                                        ; implicit-def: $sgpr44
                                        ; implicit-def: $sgpr43
	s_inst_prefetch 0x1
	s_branch .LBB31_34
	.p2align	6
.LBB31_33:                              ;   in Loop: Header=BB31_34 Depth=3
	s_or_b32 exec_lo, exec_lo, s45
	s_and_b32 s45, exec_lo, s44
	s_or_b32 s42, s45, s42
	s_andn2_b32 s41, s41, exec_lo
	s_and_b32 s45, s43, exec_lo
	s_or_b32 s41, s41, s45
	s_andn2_b32 exec_lo, exec_lo, s42
	s_cbranch_execz .LBB31_36
.LBB31_34:                              ;   Parent Loop BB31_4 Depth=1
                                        ;     Parent Loop BB31_8 Depth=2
                                        ; =>    This Inner Loop Header: Depth=3
	v_add_nc_u32_e32 v7, v9, v10
	s_or_b32 s43, s43, exec_lo
	s_or_b32 s44, s44, exec_lo
	s_mov_b32 s45, exec_lo
	v_ashrrev_i32_e32 v8, 31, v7
	v_lshlrev_b64 v[11:12], 2, v[7:8]
	v_add_co_u32 v11, vcc_lo, s12, v11
	v_add_co_ci_u32_e64 v12, null, s13, v12, vcc_lo
	global_load_dword v2, v[11:12], off
	s_waitcnt vmcnt(0)
	v_subrev_nc_u32_e32 v2, s4, v2
	v_cmpx_ne_u32_e64 v2, v1
	s_cbranch_execz .LBB31_33
; %bb.35:                               ;   in Loop: Header=BB31_34 Depth=3
	v_add_nc_u32_e32 v10, 1, v10
	s_andn2_b32 s44, s44, exec_lo
	s_andn2_b32 s43, s43, exec_lo
	v_cmp_ge_i32_e32 vcc_lo, v10, v19
	s_and_b32 s46, vcc_lo, exec_lo
	s_or_b32 s44, s44, s46
	s_branch .LBB31_33
.LBB31_36:                              ;   in Loop: Header=BB31_8 Depth=2
	s_inst_prefetch 0x2
	s_or_b32 exec_lo, exec_lo, s42
	s_mov_b32 s42, s38
                                        ; implicit-def: $vgpr11_vgpr12
	s_and_saveexec_b32 s43, s41
	s_xor_b32 s41, exec_lo, s43
	s_cbranch_execz .LBB31_38
; %bb.37:                               ;   in Loop: Header=BB31_8 Depth=2
	v_lshlrev_b64 v[7:8], 3, v[7:8]
	s_or_b32 s42, s38, exec_lo
	v_add_co_u32 v11, vcc_lo, s14, v7
	v_add_co_ci_u32_e64 v12, null, s15, v8, vcc_lo
	global_store_dword v[11:12], v20, off
.LBB31_38:                              ;   in Loop: Header=BB31_8 Depth=2
	s_or_b32 exec_lo, exec_lo, s41
	s_andn2_b32 s41, s38, exec_lo
	s_and_b32 s42, s42, exec_lo
	s_or_b32 s41, s41, s42
.LBB31_39:                              ;   in Loop: Header=BB31_8 Depth=2
	s_or_b32 exec_lo, exec_lo, s40
	s_andn2_b32 s38, s38, exec_lo
	s_and_b32 s40, s41, exec_lo
	s_or_b32 s38, s38, s40
.LBB31_40:                              ;   in Loop: Header=BB31_8 Depth=2
	s_or_b32 exec_lo, exec_lo, s39
	s_and_b32 s38, s38, exec_lo
                                        ; implicit-def: $vgpr20
                                        ; implicit-def: $vgpr7_vgpr8
	s_andn2_saveexec_b32 s1, s1
	s_cbranch_execz .LBB31_27
.LBB31_41:                              ;   in Loop: Header=BB31_8 Depth=2
	s_mov_b32 s40, s38
	s_mov_b32 s39, exec_lo
                                        ; implicit-def: $vgpr11_vgpr12
	v_cmpx_lt_i32_e64 v2, v14
	s_cbranch_execz .LBB31_49
; %bb.42:                               ;   in Loop: Header=BB31_8 Depth=2
	s_mov_b32 s41, 0
                                        ; implicit-def: $sgpr40
                                        ; implicit-def: $sgpr43
                                        ; implicit-def: $sgpr42
	s_inst_prefetch 0x1
	s_branch .LBB31_44
	.p2align	6
.LBB31_43:                              ;   in Loop: Header=BB31_44 Depth=3
	s_or_b32 exec_lo, exec_lo, s44
	s_and_b32 s44, exec_lo, s43
	s_or_b32 s41, s44, s41
	s_andn2_b32 s40, s40, exec_lo
	s_and_b32 s44, s42, exec_lo
	s_or_b32 s40, s40, s44
	s_andn2_b32 exec_lo, exec_lo, s41
	s_cbranch_execz .LBB31_46
.LBB31_44:                              ;   Parent Loop BB31_4 Depth=1
                                        ;     Parent Loop BB31_8 Depth=2
                                        ; =>    This Inner Loop Header: Depth=3
	v_add_nc_u32_e32 v8, v6, v2
	s_or_b32 s42, s42, exec_lo
	s_or_b32 s43, s43, exec_lo
	s_mov_b32 s44, exec_lo
	v_ashrrev_i32_e32 v9, 31, v8
	v_lshlrev_b64 v[10:11], 2, v[8:9]
	v_add_co_u32 v10, vcc_lo, s20, v10
	v_add_co_ci_u32_e64 v11, null, s21, v11, vcc_lo
	global_load_dword v10, v[10:11], off
	s_waitcnt vmcnt(0)
	v_subrev_nc_u32_e32 v10, s35, v10
	v_cmpx_ne_u32_e64 v10, v7
	s_cbranch_execz .LBB31_43
; %bb.45:                               ;   in Loop: Header=BB31_44 Depth=3
	v_add_nc_u32_e32 v2, 1, v2
	s_andn2_b32 s43, s43, exec_lo
	s_andn2_b32 s42, s42, exec_lo
	v_cmp_ge_i32_e32 vcc_lo, v2, v14
	s_and_b32 s45, vcc_lo, exec_lo
	s_or_b32 s43, s43, s45
	s_branch .LBB31_43
.LBB31_46:                              ;   in Loop: Header=BB31_8 Depth=2
	s_inst_prefetch 0x2
	s_or_b32 exec_lo, exec_lo, s41
	s_mov_b32 s41, s38
                                        ; implicit-def: $vgpr11_vgpr12
	s_and_saveexec_b32 s42, s40
	s_xor_b32 s40, exec_lo, s42
	s_cbranch_execz .LBB31_48
; %bb.47:                               ;   in Loop: Header=BB31_8 Depth=2
	v_lshlrev_b64 v[7:8], 3, v[8:9]
	s_or_b32 s41, s38, exec_lo
	v_add_co_u32 v11, vcc_lo, s22, v7
	v_add_co_ci_u32_e64 v12, null, s23, v8, vcc_lo
	global_store_dword v[11:12], v20, off
.LBB31_48:                              ;   in Loop: Header=BB31_8 Depth=2
	s_or_b32 exec_lo, exec_lo, s40
	s_andn2_b32 s40, s38, exec_lo
	s_and_b32 s41, s41, exec_lo
	s_or_b32 s40, s40, s41
.LBB31_49:                              ;   in Loop: Header=BB31_8 Depth=2
	s_or_b32 exec_lo, exec_lo, s39
	s_andn2_b32 s38, s38, exec_lo
	s_and_b32 s39, s40, exec_lo
	s_or_b32 s38, s38, s39
	s_or_b32 exec_lo, exec_lo, s1
	s_and_b32 exec_lo, exec_lo, s38
	s_cbranch_execz .LBB31_7
.LBB31_50:                              ;   in Loop: Header=BB31_8 Depth=2
	global_store_dword v[11:12], v5, off offset:4
	s_branch .LBB31_7
.LBB31_51:
	s_endpgm
	.section	.rodata,"a",@progbits
	.p2align	6, 0x0
	.amdhsa_kernel _ZN9rocsparseL25kernel_correction_no_normILi1024ELi8E21rocsparse_complex_numIfEiiEEvT3_T2_PKS4_S6_PKS3_PKT1_21rocsparse_index_base_S6_S6_S8_PS9_SC_S6_S6_S8_SD_SC_SD_
		.amdhsa_group_segment_fixed_size 0
		.amdhsa_private_segment_fixed_size 0
		.amdhsa_kernarg_size 136
		.amdhsa_user_sgpr_count 6
		.amdhsa_user_sgpr_private_segment_buffer 1
		.amdhsa_user_sgpr_dispatch_ptr 0
		.amdhsa_user_sgpr_queue_ptr 0
		.amdhsa_user_sgpr_kernarg_segment_ptr 1
		.amdhsa_user_sgpr_dispatch_id 0
		.amdhsa_user_sgpr_flat_scratch_init 0
		.amdhsa_user_sgpr_private_segment_size 0
		.amdhsa_wavefront_size32 1
		.amdhsa_uses_dynamic_stack 0
		.amdhsa_system_sgpr_private_segment_wavefront_offset 0
		.amdhsa_system_sgpr_workgroup_id_x 1
		.amdhsa_system_sgpr_workgroup_id_y 0
		.amdhsa_system_sgpr_workgroup_id_z 0
		.amdhsa_system_sgpr_workgroup_info 0
		.amdhsa_system_vgpr_workitem_id 0
		.amdhsa_next_free_vgpr 31
		.amdhsa_next_free_sgpr 47
		.amdhsa_reserve_vcc 1
		.amdhsa_reserve_flat_scratch 0
		.amdhsa_float_round_mode_32 0
		.amdhsa_float_round_mode_16_64 0
		.amdhsa_float_denorm_mode_32 3
		.amdhsa_float_denorm_mode_16_64 3
		.amdhsa_dx10_clamp 1
		.amdhsa_ieee_mode 1
		.amdhsa_fp16_overflow 0
		.amdhsa_workgroup_processor_mode 1
		.amdhsa_memory_ordered 1
		.amdhsa_forward_progress 1
		.amdhsa_shared_vgpr_count 0
		.amdhsa_exception_fp_ieee_invalid_op 0
		.amdhsa_exception_fp_denorm_src 0
		.amdhsa_exception_fp_ieee_div_zero 0
		.amdhsa_exception_fp_ieee_overflow 0
		.amdhsa_exception_fp_ieee_underflow 0
		.amdhsa_exception_fp_ieee_inexact 0
		.amdhsa_exception_int_div_zero 0
	.end_amdhsa_kernel
	.section	.text._ZN9rocsparseL25kernel_correction_no_normILi1024ELi8E21rocsparse_complex_numIfEiiEEvT3_T2_PKS4_S6_PKS3_PKT1_21rocsparse_index_base_S6_S6_S8_PS9_SC_S6_S6_S8_SD_SC_SD_,"axG",@progbits,_ZN9rocsparseL25kernel_correction_no_normILi1024ELi8E21rocsparse_complex_numIfEiiEEvT3_T2_PKS4_S6_PKS3_PKT1_21rocsparse_index_base_S6_S6_S8_PS9_SC_S6_S6_S8_SD_SC_SD_,comdat
.Lfunc_end31:
	.size	_ZN9rocsparseL25kernel_correction_no_normILi1024ELi8E21rocsparse_complex_numIfEiiEEvT3_T2_PKS4_S6_PKS3_PKT1_21rocsparse_index_base_S6_S6_S8_PS9_SC_S6_S6_S8_SD_SC_SD_, .Lfunc_end31-_ZN9rocsparseL25kernel_correction_no_normILi1024ELi8E21rocsparse_complex_numIfEiiEEvT3_T2_PKS4_S6_PKS3_PKT1_21rocsparse_index_base_S6_S6_S8_PS9_SC_S6_S6_S8_SD_SC_SD_
                                        ; -- End function
	.set _ZN9rocsparseL25kernel_correction_no_normILi1024ELi8E21rocsparse_complex_numIfEiiEEvT3_T2_PKS4_S6_PKS3_PKT1_21rocsparse_index_base_S6_S6_S8_PS9_SC_S6_S6_S8_SD_SC_SD_.num_vgpr, 31
	.set _ZN9rocsparseL25kernel_correction_no_normILi1024ELi8E21rocsparse_complex_numIfEiiEEvT3_T2_PKS4_S6_PKS3_PKT1_21rocsparse_index_base_S6_S6_S8_PS9_SC_S6_S6_S8_SD_SC_SD_.num_agpr, 0
	.set _ZN9rocsparseL25kernel_correction_no_normILi1024ELi8E21rocsparse_complex_numIfEiiEEvT3_T2_PKS4_S6_PKS3_PKT1_21rocsparse_index_base_S6_S6_S8_PS9_SC_S6_S6_S8_SD_SC_SD_.numbered_sgpr, 47
	.set _ZN9rocsparseL25kernel_correction_no_normILi1024ELi8E21rocsparse_complex_numIfEiiEEvT3_T2_PKS4_S6_PKS3_PKT1_21rocsparse_index_base_S6_S6_S8_PS9_SC_S6_S6_S8_SD_SC_SD_.num_named_barrier, 0
	.set _ZN9rocsparseL25kernel_correction_no_normILi1024ELi8E21rocsparse_complex_numIfEiiEEvT3_T2_PKS4_S6_PKS3_PKT1_21rocsparse_index_base_S6_S6_S8_PS9_SC_S6_S6_S8_SD_SC_SD_.private_seg_size, 0
	.set _ZN9rocsparseL25kernel_correction_no_normILi1024ELi8E21rocsparse_complex_numIfEiiEEvT3_T2_PKS4_S6_PKS3_PKT1_21rocsparse_index_base_S6_S6_S8_PS9_SC_S6_S6_S8_SD_SC_SD_.uses_vcc, 1
	.set _ZN9rocsparseL25kernel_correction_no_normILi1024ELi8E21rocsparse_complex_numIfEiiEEvT3_T2_PKS4_S6_PKS3_PKT1_21rocsparse_index_base_S6_S6_S8_PS9_SC_S6_S6_S8_SD_SC_SD_.uses_flat_scratch, 0
	.set _ZN9rocsparseL25kernel_correction_no_normILi1024ELi8E21rocsparse_complex_numIfEiiEEvT3_T2_PKS4_S6_PKS3_PKT1_21rocsparse_index_base_S6_S6_S8_PS9_SC_S6_S6_S8_SD_SC_SD_.has_dyn_sized_stack, 0
	.set _ZN9rocsparseL25kernel_correction_no_normILi1024ELi8E21rocsparse_complex_numIfEiiEEvT3_T2_PKS4_S6_PKS3_PKT1_21rocsparse_index_base_S6_S6_S8_PS9_SC_S6_S6_S8_SD_SC_SD_.has_recursion, 0
	.set _ZN9rocsparseL25kernel_correction_no_normILi1024ELi8E21rocsparse_complex_numIfEiiEEvT3_T2_PKS4_S6_PKS3_PKT1_21rocsparse_index_base_S6_S6_S8_PS9_SC_S6_S6_S8_SD_SC_SD_.has_indirect_call, 0
	.section	.AMDGPU.csdata,"",@progbits
; Kernel info:
; codeLenInByte = 2428
; TotalNumSgprs: 49
; NumVgprs: 31
; ScratchSize: 0
; MemoryBound: 0
; FloatMode: 240
; IeeeMode: 1
; LDSByteSize: 0 bytes/workgroup (compile time only)
; SGPRBlocks: 0
; VGPRBlocks: 3
; NumSGPRsForWavesPerEU: 49
; NumVGPRsForWavesPerEU: 31
; Occupancy: 16
; WaveLimiterHint : 1
; COMPUTE_PGM_RSRC2:SCRATCH_EN: 0
; COMPUTE_PGM_RSRC2:USER_SGPR: 6
; COMPUTE_PGM_RSRC2:TRAP_HANDLER: 0
; COMPUTE_PGM_RSRC2:TGID_X_EN: 1
; COMPUTE_PGM_RSRC2:TGID_Y_EN: 0
; COMPUTE_PGM_RSRC2:TGID_Z_EN: 0
; COMPUTE_PGM_RSRC2:TIDIG_COMP_CNT: 0
	.section	.text._ZN9rocsparseL25kernel_correction_no_normILi1024ELi16E21rocsparse_complex_numIfEiiEEvT3_T2_PKS4_S6_PKS3_PKT1_21rocsparse_index_base_S6_S6_S8_PS9_SC_S6_S6_S8_SD_SC_SD_,"axG",@progbits,_ZN9rocsparseL25kernel_correction_no_normILi1024ELi16E21rocsparse_complex_numIfEiiEEvT3_T2_PKS4_S6_PKS3_PKT1_21rocsparse_index_base_S6_S6_S8_PS9_SC_S6_S6_S8_SD_SC_SD_,comdat
	.globl	_ZN9rocsparseL25kernel_correction_no_normILi1024ELi16E21rocsparse_complex_numIfEiiEEvT3_T2_PKS4_S6_PKS3_PKT1_21rocsparse_index_base_S6_S6_S8_PS9_SC_S6_S6_S8_SD_SC_SD_ ; -- Begin function _ZN9rocsparseL25kernel_correction_no_normILi1024ELi16E21rocsparse_complex_numIfEiiEEvT3_T2_PKS4_S6_PKS3_PKT1_21rocsparse_index_base_S6_S6_S8_PS9_SC_S6_S6_S8_SD_SC_SD_
	.p2align	8
	.type	_ZN9rocsparseL25kernel_correction_no_normILi1024ELi16E21rocsparse_complex_numIfEiiEEvT3_T2_PKS4_S6_PKS3_PKT1_21rocsparse_index_base_S6_S6_S8_PS9_SC_S6_S6_S8_SD_SC_SD_,@function
_ZN9rocsparseL25kernel_correction_no_normILi1024ELi16E21rocsparse_complex_numIfEiiEEvT3_T2_PKS4_S6_PKS3_PKT1_21rocsparse_index_base_S6_S6_S8_PS9_SC_S6_S6_S8_SD_SC_SD_: ; @_ZN9rocsparseL25kernel_correction_no_normILi1024ELi16E21rocsparse_complex_numIfEiiEEvT3_T2_PKS4_S6_PKS3_PKT1_21rocsparse_index_base_S6_S6_S8_PS9_SC_S6_S6_S8_SD_SC_SD_
; %bb.0:
	s_load_dword s3, s[4:5], 0x0
	v_lshrrev_b32_e32 v1, 4, v0
	s_lshl_b32 s33, s6, 10
	s_mov_b32 s0, exec_lo
	v_or_b32_e32 v1, s33, v1
	s_waitcnt lgkmcnt(0)
	v_cmpx_gt_i32_e64 s3, v1
	s_cbranch_execz .LBB32_51
; %bb.1:
	s_addk_i32 s33, 0x400
	v_cmp_gt_u32_e32 vcc_lo, s33, v1
	s_and_b32 exec_lo, exec_lo, vcc_lo
	s_cbranch_execz .LBB32_51
; %bb.2:
	s_clause 0x6
	s_load_dword s34, s[4:5], 0x28
	s_load_dwordx8 s[8:15], s[4:5], 0x58
	s_load_dwordx8 s[16:23], s[4:5], 0x30
	;; [unrolled: 1-line block ×3, first 2 shown]
	s_load_dword s35, s[4:5], 0x50
	s_load_dwordx2 s[6:7], s[4:5], 0x80
	s_load_dword s4, s[4:5], 0x78
	v_and_b32_e32 v0, 15, v0
	v_mov_b32_e32 v3, 0
	s_mov_b32 s5, 0
	s_waitcnt lgkmcnt(0)
	v_subrev_nc_u32_e32 v0, s34, v0
	s_branch .LBB32_4
.LBB32_3:                               ;   in Loop: Header=BB32_4 Depth=1
	s_or_b32 exec_lo, exec_lo, s36
	v_add_nc_u32_e32 v1, 64, v1
	v_cmp_le_u32_e32 vcc_lo, s33, v1
	s_or_b32 s5, vcc_lo, s5
	s_andn2_b32 exec_lo, exec_lo, s5
	s_cbranch_execz .LBB32_51
.LBB32_4:                               ; =>This Loop Header: Depth=1
                                        ;     Child Loop BB32_8 Depth 2
                                        ;       Child Loop BB32_12 Depth 3
                                        ;       Child Loop BB32_34 Depth 3
	;; [unrolled: 1-line block ×3, first 2 shown]
	s_mov_b32 s36, exec_lo
	v_cmpx_gt_i32_e64 s3, v1
	s_cbranch_execz .LBB32_3
; %bb.5:                                ;   in Loop: Header=BB32_4 Depth=1
	v_ashrrev_i32_e32 v2, 31, v1
	v_lshlrev_b64 v[5:6], 2, v[1:2]
	v_add_co_u32 v7, vcc_lo, s24, v5
	v_add_co_ci_u32_e64 v8, null, s25, v6, vcc_lo
	v_add_co_u32 v9, vcc_lo, s26, v5
	v_add_co_ci_u32_e64 v10, null, s27, v6, vcc_lo
	global_load_dword v2, v[7:8], off
	global_load_dword v7, v[9:10], off
	s_waitcnt vmcnt(1)
	v_add_nc_u32_e32 v4, v0, v2
	s_waitcnt vmcnt(0)
	v_subrev_nc_u32_e32 v13, s34, v7
	v_cmp_lt_i32_e32 vcc_lo, v4, v13
	s_and_b32 exec_lo, exec_lo, vcc_lo
	s_cbranch_execz .LBB32_3
; %bb.6:                                ;   in Loop: Header=BB32_4 Depth=1
	v_add_co_u32 v7, vcc_lo, s16, v5
	v_add_co_ci_u32_e64 v8, null, s17, v6, vcc_lo
	v_add_co_u32 v5, vcc_lo, s18, v5
	v_add_co_ci_u32_e64 v6, null, s19, v6, vcc_lo
	global_load_dword v2, v[7:8], off
	s_mov_b32 s37, 0
	global_load_dword v5, v[5:6], off
	s_waitcnt vmcnt(1)
	v_subrev_nc_u32_e32 v6, s35, v2
	s_waitcnt vmcnt(0)
	v_sub_nc_u32_e32 v14, v5, v2
	v_ashrrev_i32_e32 v7, 31, v6
	v_cmp_lt_i32_e64 s0, 0, v14
	v_lshlrev_b64 v[8:9], 2, v[6:7]
	v_lshlrev_b64 v[10:11], 3, v[6:7]
	v_add_co_u32 v15, vcc_lo, s20, v8
	v_add_co_ci_u32_e64 v16, null, s21, v9, vcc_lo
	v_add_co_u32 v17, vcc_lo, s22, v10
	v_add_co_ci_u32_e64 v18, null, s23, v11, vcc_lo
	s_branch .LBB32_8
.LBB32_7:                               ;   in Loop: Header=BB32_8 Depth=2
	s_or_b32 exec_lo, exec_lo, s2
	v_add_nc_u32_e32 v4, 16, v4
	v_cmp_ge_i32_e32 vcc_lo, v4, v13
	s_or_b32 s37, vcc_lo, s37
	s_andn2_b32 exec_lo, exec_lo, s37
	s_cbranch_execz .LBB32_3
.LBB32_8:                               ;   Parent Loop BB32_4 Depth=1
                                        ; =>  This Loop Header: Depth=2
                                        ;       Child Loop BB32_12 Depth 3
                                        ;       Child Loop BB32_34 Depth 3
	;; [unrolled: 1-line block ×3, first 2 shown]
	v_ashrrev_i32_e32 v5, 31, v4
	v_mov_b32_e32 v21, 0
	v_lshlrev_b64 v[7:8], 2, v[4:5]
	v_add_co_u32 v7, vcc_lo, s28, v7
	v_add_co_ci_u32_e64 v8, null, s29, v8, vcc_lo
	global_load_dword v2, v[7:8], off
	s_waitcnt vmcnt(0)
	v_subrev_nc_u32_e32 v7, s34, v2
	v_mov_b32_e32 v2, 0
	v_ashrrev_i32_e32 v8, 31, v7
	v_lshlrev_b64 v[9:10], 2, v[7:8]
	v_add_co_u32 v11, vcc_lo, s8, v9
	v_add_co_ci_u32_e64 v12, null, s9, v10, vcc_lo
	v_add_co_u32 v9, vcc_lo, s10, v9
	v_add_co_ci_u32_e64 v10, null, s11, v10, vcc_lo
	global_load_dword v11, v[11:12], off
	global_load_dword v10, v[9:10], off
	v_mov_b32_e32 v12, 0
	s_waitcnt vmcnt(1)
	v_subrev_nc_u32_e32 v9, s4, v11
	s_waitcnt vmcnt(0)
	v_sub_nc_u32_e32 v19, v10, v11
	v_mov_b32_e32 v10, v2
	s_and_saveexec_b32 s2, s0
	s_cbranch_execz .LBB32_16
; %bb.9:                                ;   in Loop: Header=BB32_8 Depth=2
	v_ashrrev_i32_e32 v10, 31, v9
	v_mov_b32_e32 v12, 0
	v_mov_b32_e32 v2, 0
	s_mov_b32 s38, 0
                                        ; implicit-def: $sgpr39
	v_lshlrev_b64 v[20:21], 2, v[9:10]
	v_lshlrev_b64 v[10:11], 3, v[9:10]
	v_add_co_u32 v20, vcc_lo, s12, v20
	v_add_co_ci_u32_e64 v22, null, s13, v21, vcc_lo
	v_add_co_u32 v23, vcc_lo, s14, v10
	v_add_co_ci_u32_e64 v24, null, s15, v11, vcc_lo
	v_mov_b32_e32 v10, 0
	v_mov_b32_e32 v21, 0
	s_branch .LBB32_12
.LBB32_10:                              ;   in Loop: Header=BB32_12 Depth=3
	s_or_b32 exec_lo, exec_lo, s1
	v_cmp_le_i32_e32 vcc_lo, v25, v26
	v_cmp_ge_i32_e64 s1, v25, v26
	v_add_co_ci_u32_e64 v2, null, 0, v2, vcc_lo
	v_add_co_ci_u32_e64 v10, null, 0, v10, s1
	s_andn2_b32 s1, s39, exec_lo
	v_cmp_ge_i32_e32 vcc_lo, v2, v14
	s_and_b32 s39, vcc_lo, exec_lo
	s_or_b32 s39, s1, s39
.LBB32_11:                              ;   in Loop: Header=BB32_12 Depth=3
	s_or_b32 exec_lo, exec_lo, s40
	s_and_b32 s1, exec_lo, s39
	s_or_b32 s38, s1, s38
	s_andn2_b32 exec_lo, exec_lo, s38
	s_cbranch_execz .LBB32_15
.LBB32_12:                              ;   Parent Loop BB32_4 Depth=1
                                        ;     Parent Loop BB32_8 Depth=2
                                        ; =>    This Inner Loop Header: Depth=3
	s_or_b32 s39, s39, exec_lo
	s_mov_b32 s40, exec_lo
	v_cmpx_lt_i32_e64 v10, v19
	s_cbranch_execz .LBB32_11
; %bb.13:                               ;   in Loop: Header=BB32_12 Depth=3
	v_mov_b32_e32 v11, v3
	v_lshlrev_b64 v[25:26], 2, v[2:3]
	s_mov_b32 s1, exec_lo
	v_lshlrev_b64 v[27:28], 2, v[10:11]
	v_add_co_u32 v25, vcc_lo, v15, v25
	v_add_co_ci_u32_e64 v26, null, v16, v26, vcc_lo
	v_add_co_u32 v27, vcc_lo, v20, v27
	v_add_co_ci_u32_e64 v28, null, v22, v28, vcc_lo
	global_load_dword v25, v[25:26], off
	global_load_dword v26, v[27:28], off
	s_waitcnt vmcnt(1)
	v_subrev_nc_u32_e32 v25, s35, v25
	s_waitcnt vmcnt(0)
	v_subrev_nc_u32_e32 v26, s4, v26
	v_cmpx_eq_u32_e64 v25, v26
	s_cbranch_execz .LBB32_10
; %bb.14:                               ;   in Loop: Header=BB32_12 Depth=3
	v_lshlrev_b64 v[27:28], 3, v[2:3]
	v_lshlrev_b64 v[29:30], 3, v[10:11]
	v_add_co_u32 v27, vcc_lo, v17, v27
	v_add_co_ci_u32_e64 v28, null, v18, v28, vcc_lo
	v_add_co_u32 v29, vcc_lo, v23, v29
	v_add_co_ci_u32_e64 v30, null, v24, v30, vcc_lo
	global_load_dwordx2 v[27:28], v[27:28], off
	global_load_dwordx2 v[29:30], v[29:30], off
	s_waitcnt vmcnt(0)
	v_fmac_f32_e32 v12, v27, v29
	v_fmac_f32_e32 v21, v28, v29
	v_fma_f32 v12, -v28, v30, v12
	v_fmac_f32_e32 v21, v27, v30
	s_branch .LBB32_10
.LBB32_15:                              ;   in Loop: Header=BB32_8 Depth=2
	s_or_b32 exec_lo, exec_lo, s38
.LBB32_16:                              ;   in Loop: Header=BB32_8 Depth=2
	s_or_b32 exec_lo, exec_lo, s2
	v_lshlrev_b64 v[22:23], 3, v[4:5]
	v_cmp_le_i32_e64 s1, v1, v7
	s_mov_b32 s2, exec_lo
	v_add_co_u32 v22, vcc_lo, s30, v22
	v_add_co_ci_u32_e64 v23, null, s31, v23, vcc_lo
	global_load_dwordx2 v[22:23], v[22:23], off
	s_waitcnt vmcnt(0)
	v_sub_f32_e32 v20, v22, v12
	v_sub_f32_e32 v5, v23, v21
	v_cmpx_gt_i32_e64 v1, v7
	s_cbranch_execz .LBB32_18
; %bb.17:                               ;   in Loop: Header=BB32_8 Depth=2
	v_lshlrev_b64 v[11:12], 3, v[7:8]
	v_add_co_u32 v11, vcc_lo, s6, v11
	v_add_co_ci_u32_e64 v12, null, s7, v12, vcc_lo
	global_load_dwordx2 v[11:12], v[11:12], off
	s_waitcnt vmcnt(0)
	v_mul_f32_e32 v21, v12, v12
	v_fmac_f32_e32 v21, v11, v11
	v_div_scale_f32 v22, null, v21, v21, 1.0
	v_div_scale_f32 v25, vcc_lo, 1.0, v21, 1.0
	v_rcp_f32_e32 v23, v22
	v_fma_f32 v24, -v22, v23, 1.0
	v_fmac_f32_e32 v23, v24, v23
	v_mul_f32_e32 v24, v25, v23
	v_fma_f32 v26, -v22, v24, v25
	v_fmac_f32_e32 v24, v26, v23
	v_fma_f32 v22, -v22, v24, v25
	v_div_fmas_f32 v22, v22, v23, v24
	v_mul_f32_e32 v23, v5, v12
	v_mul_f32_e64 v12, v12, -v20
	v_div_fixup_f32 v21, v22, v21, 1.0
	v_fmac_f32_e32 v23, v20, v11
	v_fmac_f32_e32 v12, v5, v11
	v_mul_f32_e32 v20, v23, v21
	v_mul_f32_e32 v5, v12, v21
.LBB32_18:                              ;   in Loop: Header=BB32_8 Depth=2
	s_or_b32 exec_lo, exec_lo, s2
	v_cmp_gt_f32_e32 vcc_lo, 0, v20
                                        ; implicit-def: $vgpr21
	s_mov_b32 s2, exec_lo
	v_cndmask_b32_e64 v11, v20, -v20, vcc_lo
	v_cmp_gt_f32_e32 vcc_lo, 0, v5
	v_cndmask_b32_e64 v12, v5, -v5, vcc_lo
	v_cmpx_ngt_f32_e32 v11, v12
	s_xor_b32 s38, exec_lo, s2
	s_cbranch_execnz .LBB32_21
; %bb.19:                               ;   in Loop: Header=BB32_8 Depth=2
	s_andn2_saveexec_b32 s38, s38
	s_cbranch_execnz .LBB32_24
.LBB32_20:                              ;   in Loop: Header=BB32_8 Depth=2
	s_or_b32 exec_lo, exec_lo, s38
	v_cmp_class_f32_e64 s38, v21, 0x1f8
	s_and_saveexec_b32 s2, s38
	s_cbranch_execz .LBB32_7
	s_branch .LBB32_25
.LBB32_21:                              ;   in Loop: Header=BB32_8 Depth=2
	v_mov_b32_e32 v21, 0
	s_mov_b32 s39, exec_lo
	v_cmpx_neq_f32_e32 0, v5
	s_cbranch_execz .LBB32_23
; %bb.22:                               ;   in Loop: Header=BB32_8 Depth=2
	v_div_scale_f32 v21, null, v12, v12, v11
	v_div_scale_f32 v24, vcc_lo, v11, v12, v11
	v_rcp_f32_e32 v22, v21
	v_fma_f32 v23, -v21, v22, 1.0
	v_fmac_f32_e32 v22, v23, v22
	v_mul_f32_e32 v23, v24, v22
	v_fma_f32 v25, -v21, v23, v24
	v_fmac_f32_e32 v23, v25, v22
	v_fma_f32 v21, -v21, v23, v24
	v_div_fmas_f32 v21, v21, v22, v23
	v_div_fixup_f32 v11, v21, v12, v11
	v_fma_f32 v11, v11, v11, 1.0
	v_mul_f32_e32 v21, 0x4f800000, v11
	v_cmp_gt_f32_e32 vcc_lo, 0xf800000, v11
	v_cndmask_b32_e32 v11, v11, v21, vcc_lo
	v_sqrt_f32_e32 v21, v11
	v_add_nc_u32_e32 v22, -1, v21
	v_add_nc_u32_e32 v23, 1, v21
	v_fma_f32 v24, -v22, v21, v11
	v_fma_f32 v25, -v23, v21, v11
	v_cmp_ge_f32_e64 s2, 0, v24
	v_cndmask_b32_e64 v21, v21, v22, s2
	v_cmp_lt_f32_e64 s2, 0, v25
	v_cndmask_b32_e64 v21, v21, v23, s2
	v_mul_f32_e32 v22, 0x37800000, v21
	v_cndmask_b32_e32 v21, v21, v22, vcc_lo
	v_cmp_class_f32_e64 vcc_lo, v11, 0x260
	v_cndmask_b32_e32 v11, v21, v11, vcc_lo
	v_mul_f32_e32 v21, v12, v11
.LBB32_23:                              ;   in Loop: Header=BB32_8 Depth=2
	s_or_b32 exec_lo, exec_lo, s39
                                        ; implicit-def: $vgpr11
                                        ; implicit-def: $vgpr12
	s_andn2_saveexec_b32 s38, s38
	s_cbranch_execz .LBB32_20
.LBB32_24:                              ;   in Loop: Header=BB32_8 Depth=2
	v_div_scale_f32 v21, null, v11, v11, v12
	v_div_scale_f32 v24, vcc_lo, v12, v11, v12
	v_rcp_f32_e32 v22, v21
	v_fma_f32 v23, -v21, v22, 1.0
	v_fmac_f32_e32 v22, v23, v22
	v_mul_f32_e32 v23, v24, v22
	v_fma_f32 v25, -v21, v23, v24
	v_fmac_f32_e32 v23, v25, v22
	v_fma_f32 v21, -v21, v23, v24
	v_div_fmas_f32 v21, v21, v22, v23
	v_div_fixup_f32 v12, v21, v11, v12
	v_fma_f32 v12, v12, v12, 1.0
	v_mul_f32_e32 v21, 0x4f800000, v12
	v_cmp_gt_f32_e32 vcc_lo, 0xf800000, v12
	v_cndmask_b32_e32 v12, v12, v21, vcc_lo
	v_sqrt_f32_e32 v21, v12
	v_add_nc_u32_e32 v22, -1, v21
	v_add_nc_u32_e32 v23, 1, v21
	v_fma_f32 v24, -v22, v21, v12
	v_fma_f32 v25, -v23, v21, v12
	v_cmp_ge_f32_e64 s2, 0, v24
	v_cndmask_b32_e64 v21, v21, v22, s2
	v_cmp_lt_f32_e64 s2, 0, v25
	v_cndmask_b32_e64 v21, v21, v23, s2
	v_mul_f32_e32 v22, 0x37800000, v21
	v_cndmask_b32_e32 v21, v21, v22, vcc_lo
	v_cmp_class_f32_e64 vcc_lo, v12, 0x260
	v_cndmask_b32_e32 v12, v21, v12, vcc_lo
	v_mul_f32_e32 v21, v11, v12
	s_or_b32 exec_lo, exec_lo, s38
	v_cmp_class_f32_e64 s38, v21, 0x1f8
	s_and_saveexec_b32 s2, s38
	s_cbranch_execz .LBB32_7
.LBB32_25:                              ;   in Loop: Header=BB32_8 Depth=2
	s_mov_b32 s38, 0
                                        ; implicit-def: $vgpr11_vgpr12
	s_and_saveexec_b32 s39, s1
	s_xor_b32 s1, exec_lo, s39
	s_cbranch_execnz .LBB32_28
; %bb.26:                               ;   in Loop: Header=BB32_8 Depth=2
	s_andn2_saveexec_b32 s1, s1
	s_cbranch_execnz .LBB32_41
.LBB32_27:                              ;   in Loop: Header=BB32_8 Depth=2
	s_or_b32 exec_lo, exec_lo, s1
	s_and_b32 exec_lo, exec_lo, s38
	s_cbranch_execz .LBB32_7
	s_branch .LBB32_50
.LBB32_28:                              ;   in Loop: Header=BB32_8 Depth=2
	s_mov_b32 s39, exec_lo
                                        ; implicit-def: $vgpr11_vgpr12
	v_cmpx_ge_i32_e64 v1, v7
	s_xor_b32 s39, exec_lo, s39
	s_cbranch_execz .LBB32_30
; %bb.29:                               ;   in Loop: Header=BB32_8 Depth=2
	v_lshlrev_b64 v[7:8], 3, v[7:8]
	s_mov_b32 s38, exec_lo
                                        ; implicit-def: $vgpr10
                                        ; implicit-def: $vgpr19
                                        ; implicit-def: $vgpr9
	v_add_co_u32 v11, vcc_lo, s6, v7
	v_add_co_ci_u32_e64 v12, null, s7, v8, vcc_lo
	global_store_dword v[11:12], v20, off
                                        ; implicit-def: $vgpr20
.LBB32_30:                              ;   in Loop: Header=BB32_8 Depth=2
	s_andn2_saveexec_b32 s39, s39
	s_cbranch_execz .LBB32_40
; %bb.31:                               ;   in Loop: Header=BB32_8 Depth=2
	s_mov_b32 s41, s38
	s_mov_b32 s40, exec_lo
                                        ; implicit-def: $vgpr11_vgpr12
	v_cmpx_lt_i32_e64 v10, v19
	s_cbranch_execz .LBB32_39
; %bb.32:                               ;   in Loop: Header=BB32_8 Depth=2
	s_mov_b32 s42, 0
                                        ; implicit-def: $sgpr41
                                        ; implicit-def: $sgpr44
                                        ; implicit-def: $sgpr43
	s_inst_prefetch 0x1
	s_branch .LBB32_34
	.p2align	6
.LBB32_33:                              ;   in Loop: Header=BB32_34 Depth=3
	s_or_b32 exec_lo, exec_lo, s45
	s_and_b32 s45, exec_lo, s44
	s_or_b32 s42, s45, s42
	s_andn2_b32 s41, s41, exec_lo
	s_and_b32 s45, s43, exec_lo
	s_or_b32 s41, s41, s45
	s_andn2_b32 exec_lo, exec_lo, s42
	s_cbranch_execz .LBB32_36
.LBB32_34:                              ;   Parent Loop BB32_4 Depth=1
                                        ;     Parent Loop BB32_8 Depth=2
                                        ; =>    This Inner Loop Header: Depth=3
	v_add_nc_u32_e32 v7, v9, v10
	s_or_b32 s43, s43, exec_lo
	s_or_b32 s44, s44, exec_lo
	s_mov_b32 s45, exec_lo
	v_ashrrev_i32_e32 v8, 31, v7
	v_lshlrev_b64 v[11:12], 2, v[7:8]
	v_add_co_u32 v11, vcc_lo, s12, v11
	v_add_co_ci_u32_e64 v12, null, s13, v12, vcc_lo
	global_load_dword v2, v[11:12], off
	s_waitcnt vmcnt(0)
	v_subrev_nc_u32_e32 v2, s4, v2
	v_cmpx_ne_u32_e64 v2, v1
	s_cbranch_execz .LBB32_33
; %bb.35:                               ;   in Loop: Header=BB32_34 Depth=3
	v_add_nc_u32_e32 v10, 1, v10
	s_andn2_b32 s44, s44, exec_lo
	s_andn2_b32 s43, s43, exec_lo
	v_cmp_ge_i32_e32 vcc_lo, v10, v19
	s_and_b32 s46, vcc_lo, exec_lo
	s_or_b32 s44, s44, s46
	s_branch .LBB32_33
.LBB32_36:                              ;   in Loop: Header=BB32_8 Depth=2
	s_inst_prefetch 0x2
	s_or_b32 exec_lo, exec_lo, s42
	s_mov_b32 s42, s38
                                        ; implicit-def: $vgpr11_vgpr12
	s_and_saveexec_b32 s43, s41
	s_xor_b32 s41, exec_lo, s43
	s_cbranch_execz .LBB32_38
; %bb.37:                               ;   in Loop: Header=BB32_8 Depth=2
	v_lshlrev_b64 v[7:8], 3, v[7:8]
	s_or_b32 s42, s38, exec_lo
	v_add_co_u32 v11, vcc_lo, s14, v7
	v_add_co_ci_u32_e64 v12, null, s15, v8, vcc_lo
	global_store_dword v[11:12], v20, off
.LBB32_38:                              ;   in Loop: Header=BB32_8 Depth=2
	s_or_b32 exec_lo, exec_lo, s41
	s_andn2_b32 s41, s38, exec_lo
	s_and_b32 s42, s42, exec_lo
	s_or_b32 s41, s41, s42
.LBB32_39:                              ;   in Loop: Header=BB32_8 Depth=2
	s_or_b32 exec_lo, exec_lo, s40
	s_andn2_b32 s38, s38, exec_lo
	s_and_b32 s40, s41, exec_lo
	s_or_b32 s38, s38, s40
.LBB32_40:                              ;   in Loop: Header=BB32_8 Depth=2
	s_or_b32 exec_lo, exec_lo, s39
	s_and_b32 s38, s38, exec_lo
                                        ; implicit-def: $vgpr20
                                        ; implicit-def: $vgpr7_vgpr8
	s_andn2_saveexec_b32 s1, s1
	s_cbranch_execz .LBB32_27
.LBB32_41:                              ;   in Loop: Header=BB32_8 Depth=2
	s_mov_b32 s40, s38
	s_mov_b32 s39, exec_lo
                                        ; implicit-def: $vgpr11_vgpr12
	v_cmpx_lt_i32_e64 v2, v14
	s_cbranch_execz .LBB32_49
; %bb.42:                               ;   in Loop: Header=BB32_8 Depth=2
	s_mov_b32 s41, 0
                                        ; implicit-def: $sgpr40
                                        ; implicit-def: $sgpr43
                                        ; implicit-def: $sgpr42
	s_inst_prefetch 0x1
	s_branch .LBB32_44
	.p2align	6
.LBB32_43:                              ;   in Loop: Header=BB32_44 Depth=3
	s_or_b32 exec_lo, exec_lo, s44
	s_and_b32 s44, exec_lo, s43
	s_or_b32 s41, s44, s41
	s_andn2_b32 s40, s40, exec_lo
	s_and_b32 s44, s42, exec_lo
	s_or_b32 s40, s40, s44
	s_andn2_b32 exec_lo, exec_lo, s41
	s_cbranch_execz .LBB32_46
.LBB32_44:                              ;   Parent Loop BB32_4 Depth=1
                                        ;     Parent Loop BB32_8 Depth=2
                                        ; =>    This Inner Loop Header: Depth=3
	v_add_nc_u32_e32 v8, v6, v2
	s_or_b32 s42, s42, exec_lo
	s_or_b32 s43, s43, exec_lo
	s_mov_b32 s44, exec_lo
	v_ashrrev_i32_e32 v9, 31, v8
	v_lshlrev_b64 v[10:11], 2, v[8:9]
	v_add_co_u32 v10, vcc_lo, s20, v10
	v_add_co_ci_u32_e64 v11, null, s21, v11, vcc_lo
	global_load_dword v10, v[10:11], off
	s_waitcnt vmcnt(0)
	v_subrev_nc_u32_e32 v10, s35, v10
	v_cmpx_ne_u32_e64 v10, v7
	s_cbranch_execz .LBB32_43
; %bb.45:                               ;   in Loop: Header=BB32_44 Depth=3
	v_add_nc_u32_e32 v2, 1, v2
	s_andn2_b32 s43, s43, exec_lo
	s_andn2_b32 s42, s42, exec_lo
	v_cmp_ge_i32_e32 vcc_lo, v2, v14
	s_and_b32 s45, vcc_lo, exec_lo
	s_or_b32 s43, s43, s45
	s_branch .LBB32_43
.LBB32_46:                              ;   in Loop: Header=BB32_8 Depth=2
	s_inst_prefetch 0x2
	s_or_b32 exec_lo, exec_lo, s41
	s_mov_b32 s41, s38
                                        ; implicit-def: $vgpr11_vgpr12
	s_and_saveexec_b32 s42, s40
	s_xor_b32 s40, exec_lo, s42
	s_cbranch_execz .LBB32_48
; %bb.47:                               ;   in Loop: Header=BB32_8 Depth=2
	v_lshlrev_b64 v[7:8], 3, v[8:9]
	s_or_b32 s41, s38, exec_lo
	v_add_co_u32 v11, vcc_lo, s22, v7
	v_add_co_ci_u32_e64 v12, null, s23, v8, vcc_lo
	global_store_dword v[11:12], v20, off
.LBB32_48:                              ;   in Loop: Header=BB32_8 Depth=2
	s_or_b32 exec_lo, exec_lo, s40
	s_andn2_b32 s40, s38, exec_lo
	s_and_b32 s41, s41, exec_lo
	s_or_b32 s40, s40, s41
.LBB32_49:                              ;   in Loop: Header=BB32_8 Depth=2
	s_or_b32 exec_lo, exec_lo, s39
	s_andn2_b32 s38, s38, exec_lo
	s_and_b32 s39, s40, exec_lo
	s_or_b32 s38, s38, s39
	s_or_b32 exec_lo, exec_lo, s1
	s_and_b32 exec_lo, exec_lo, s38
	s_cbranch_execz .LBB32_7
.LBB32_50:                              ;   in Loop: Header=BB32_8 Depth=2
	global_store_dword v[11:12], v5, off offset:4
	s_branch .LBB32_7
.LBB32_51:
	s_endpgm
	.section	.rodata,"a",@progbits
	.p2align	6, 0x0
	.amdhsa_kernel _ZN9rocsparseL25kernel_correction_no_normILi1024ELi16E21rocsparse_complex_numIfEiiEEvT3_T2_PKS4_S6_PKS3_PKT1_21rocsparse_index_base_S6_S6_S8_PS9_SC_S6_S6_S8_SD_SC_SD_
		.amdhsa_group_segment_fixed_size 0
		.amdhsa_private_segment_fixed_size 0
		.amdhsa_kernarg_size 136
		.amdhsa_user_sgpr_count 6
		.amdhsa_user_sgpr_private_segment_buffer 1
		.amdhsa_user_sgpr_dispatch_ptr 0
		.amdhsa_user_sgpr_queue_ptr 0
		.amdhsa_user_sgpr_kernarg_segment_ptr 1
		.amdhsa_user_sgpr_dispatch_id 0
		.amdhsa_user_sgpr_flat_scratch_init 0
		.amdhsa_user_sgpr_private_segment_size 0
		.amdhsa_wavefront_size32 1
		.amdhsa_uses_dynamic_stack 0
		.amdhsa_system_sgpr_private_segment_wavefront_offset 0
		.amdhsa_system_sgpr_workgroup_id_x 1
		.amdhsa_system_sgpr_workgroup_id_y 0
		.amdhsa_system_sgpr_workgroup_id_z 0
		.amdhsa_system_sgpr_workgroup_info 0
		.amdhsa_system_vgpr_workitem_id 0
		.amdhsa_next_free_vgpr 31
		.amdhsa_next_free_sgpr 47
		.amdhsa_reserve_vcc 1
		.amdhsa_reserve_flat_scratch 0
		.amdhsa_float_round_mode_32 0
		.amdhsa_float_round_mode_16_64 0
		.amdhsa_float_denorm_mode_32 3
		.amdhsa_float_denorm_mode_16_64 3
		.amdhsa_dx10_clamp 1
		.amdhsa_ieee_mode 1
		.amdhsa_fp16_overflow 0
		.amdhsa_workgroup_processor_mode 1
		.amdhsa_memory_ordered 1
		.amdhsa_forward_progress 1
		.amdhsa_shared_vgpr_count 0
		.amdhsa_exception_fp_ieee_invalid_op 0
		.amdhsa_exception_fp_denorm_src 0
		.amdhsa_exception_fp_ieee_div_zero 0
		.amdhsa_exception_fp_ieee_overflow 0
		.amdhsa_exception_fp_ieee_underflow 0
		.amdhsa_exception_fp_ieee_inexact 0
		.amdhsa_exception_int_div_zero 0
	.end_amdhsa_kernel
	.section	.text._ZN9rocsparseL25kernel_correction_no_normILi1024ELi16E21rocsparse_complex_numIfEiiEEvT3_T2_PKS4_S6_PKS3_PKT1_21rocsparse_index_base_S6_S6_S8_PS9_SC_S6_S6_S8_SD_SC_SD_,"axG",@progbits,_ZN9rocsparseL25kernel_correction_no_normILi1024ELi16E21rocsparse_complex_numIfEiiEEvT3_T2_PKS4_S6_PKS3_PKT1_21rocsparse_index_base_S6_S6_S8_PS9_SC_S6_S6_S8_SD_SC_SD_,comdat
.Lfunc_end32:
	.size	_ZN9rocsparseL25kernel_correction_no_normILi1024ELi16E21rocsparse_complex_numIfEiiEEvT3_T2_PKS4_S6_PKS3_PKT1_21rocsparse_index_base_S6_S6_S8_PS9_SC_S6_S6_S8_SD_SC_SD_, .Lfunc_end32-_ZN9rocsparseL25kernel_correction_no_normILi1024ELi16E21rocsparse_complex_numIfEiiEEvT3_T2_PKS4_S6_PKS3_PKT1_21rocsparse_index_base_S6_S6_S8_PS9_SC_S6_S6_S8_SD_SC_SD_
                                        ; -- End function
	.set _ZN9rocsparseL25kernel_correction_no_normILi1024ELi16E21rocsparse_complex_numIfEiiEEvT3_T2_PKS4_S6_PKS3_PKT1_21rocsparse_index_base_S6_S6_S8_PS9_SC_S6_S6_S8_SD_SC_SD_.num_vgpr, 31
	.set _ZN9rocsparseL25kernel_correction_no_normILi1024ELi16E21rocsparse_complex_numIfEiiEEvT3_T2_PKS4_S6_PKS3_PKT1_21rocsparse_index_base_S6_S6_S8_PS9_SC_S6_S6_S8_SD_SC_SD_.num_agpr, 0
	.set _ZN9rocsparseL25kernel_correction_no_normILi1024ELi16E21rocsparse_complex_numIfEiiEEvT3_T2_PKS4_S6_PKS3_PKT1_21rocsparse_index_base_S6_S6_S8_PS9_SC_S6_S6_S8_SD_SC_SD_.numbered_sgpr, 47
	.set _ZN9rocsparseL25kernel_correction_no_normILi1024ELi16E21rocsparse_complex_numIfEiiEEvT3_T2_PKS4_S6_PKS3_PKT1_21rocsparse_index_base_S6_S6_S8_PS9_SC_S6_S6_S8_SD_SC_SD_.num_named_barrier, 0
	.set _ZN9rocsparseL25kernel_correction_no_normILi1024ELi16E21rocsparse_complex_numIfEiiEEvT3_T2_PKS4_S6_PKS3_PKT1_21rocsparse_index_base_S6_S6_S8_PS9_SC_S6_S6_S8_SD_SC_SD_.private_seg_size, 0
	.set _ZN9rocsparseL25kernel_correction_no_normILi1024ELi16E21rocsparse_complex_numIfEiiEEvT3_T2_PKS4_S6_PKS3_PKT1_21rocsparse_index_base_S6_S6_S8_PS9_SC_S6_S6_S8_SD_SC_SD_.uses_vcc, 1
	.set _ZN9rocsparseL25kernel_correction_no_normILi1024ELi16E21rocsparse_complex_numIfEiiEEvT3_T2_PKS4_S6_PKS3_PKT1_21rocsparse_index_base_S6_S6_S8_PS9_SC_S6_S6_S8_SD_SC_SD_.uses_flat_scratch, 0
	.set _ZN9rocsparseL25kernel_correction_no_normILi1024ELi16E21rocsparse_complex_numIfEiiEEvT3_T2_PKS4_S6_PKS3_PKT1_21rocsparse_index_base_S6_S6_S8_PS9_SC_S6_S6_S8_SD_SC_SD_.has_dyn_sized_stack, 0
	.set _ZN9rocsparseL25kernel_correction_no_normILi1024ELi16E21rocsparse_complex_numIfEiiEEvT3_T2_PKS4_S6_PKS3_PKT1_21rocsparse_index_base_S6_S6_S8_PS9_SC_S6_S6_S8_SD_SC_SD_.has_recursion, 0
	.set _ZN9rocsparseL25kernel_correction_no_normILi1024ELi16E21rocsparse_complex_numIfEiiEEvT3_T2_PKS4_S6_PKS3_PKT1_21rocsparse_index_base_S6_S6_S8_PS9_SC_S6_S6_S8_SD_SC_SD_.has_indirect_call, 0
	.section	.AMDGPU.csdata,"",@progbits
; Kernel info:
; codeLenInByte = 2428
; TotalNumSgprs: 49
; NumVgprs: 31
; ScratchSize: 0
; MemoryBound: 0
; FloatMode: 240
; IeeeMode: 1
; LDSByteSize: 0 bytes/workgroup (compile time only)
; SGPRBlocks: 0
; VGPRBlocks: 3
; NumSGPRsForWavesPerEU: 49
; NumVGPRsForWavesPerEU: 31
; Occupancy: 16
; WaveLimiterHint : 1
; COMPUTE_PGM_RSRC2:SCRATCH_EN: 0
; COMPUTE_PGM_RSRC2:USER_SGPR: 6
; COMPUTE_PGM_RSRC2:TRAP_HANDLER: 0
; COMPUTE_PGM_RSRC2:TGID_X_EN: 1
; COMPUTE_PGM_RSRC2:TGID_Y_EN: 0
; COMPUTE_PGM_RSRC2:TGID_Z_EN: 0
; COMPUTE_PGM_RSRC2:TIDIG_COMP_CNT: 0
	.section	.text._ZN9rocsparseL25kernel_correction_no_normILi1024ELi32E21rocsparse_complex_numIfEiiEEvT3_T2_PKS4_S6_PKS3_PKT1_21rocsparse_index_base_S6_S6_S8_PS9_SC_S6_S6_S8_SD_SC_SD_,"axG",@progbits,_ZN9rocsparseL25kernel_correction_no_normILi1024ELi32E21rocsparse_complex_numIfEiiEEvT3_T2_PKS4_S6_PKS3_PKT1_21rocsparse_index_base_S6_S6_S8_PS9_SC_S6_S6_S8_SD_SC_SD_,comdat
	.globl	_ZN9rocsparseL25kernel_correction_no_normILi1024ELi32E21rocsparse_complex_numIfEiiEEvT3_T2_PKS4_S6_PKS3_PKT1_21rocsparse_index_base_S6_S6_S8_PS9_SC_S6_S6_S8_SD_SC_SD_ ; -- Begin function _ZN9rocsparseL25kernel_correction_no_normILi1024ELi32E21rocsparse_complex_numIfEiiEEvT3_T2_PKS4_S6_PKS3_PKT1_21rocsparse_index_base_S6_S6_S8_PS9_SC_S6_S6_S8_SD_SC_SD_
	.p2align	8
	.type	_ZN9rocsparseL25kernel_correction_no_normILi1024ELi32E21rocsparse_complex_numIfEiiEEvT3_T2_PKS4_S6_PKS3_PKT1_21rocsparse_index_base_S6_S6_S8_PS9_SC_S6_S6_S8_SD_SC_SD_,@function
_ZN9rocsparseL25kernel_correction_no_normILi1024ELi32E21rocsparse_complex_numIfEiiEEvT3_T2_PKS4_S6_PKS3_PKT1_21rocsparse_index_base_S6_S6_S8_PS9_SC_S6_S6_S8_SD_SC_SD_: ; @_ZN9rocsparseL25kernel_correction_no_normILi1024ELi32E21rocsparse_complex_numIfEiiEEvT3_T2_PKS4_S6_PKS3_PKT1_21rocsparse_index_base_S6_S6_S8_PS9_SC_S6_S6_S8_SD_SC_SD_
; %bb.0:
	s_load_dword s3, s[4:5], 0x0
	v_lshrrev_b32_e32 v1, 5, v0
	s_lshl_b32 s33, s6, 10
	s_mov_b32 s0, exec_lo
	v_or_b32_e32 v1, s33, v1
	s_waitcnt lgkmcnt(0)
	v_cmpx_gt_i32_e64 s3, v1
	s_cbranch_execz .LBB33_51
; %bb.1:
	s_addk_i32 s33, 0x400
	v_cmp_gt_u32_e32 vcc_lo, s33, v1
	s_and_b32 exec_lo, exec_lo, vcc_lo
	s_cbranch_execz .LBB33_51
; %bb.2:
	s_clause 0x6
	s_load_dword s34, s[4:5], 0x28
	s_load_dwordx8 s[8:15], s[4:5], 0x58
	s_load_dwordx8 s[16:23], s[4:5], 0x30
	;; [unrolled: 1-line block ×3, first 2 shown]
	s_load_dword s35, s[4:5], 0x50
	s_load_dwordx2 s[6:7], s[4:5], 0x80
	s_load_dword s4, s[4:5], 0x78
	v_and_b32_e32 v0, 31, v0
	v_mov_b32_e32 v3, 0
	s_mov_b32 s5, 0
	s_waitcnt lgkmcnt(0)
	v_subrev_nc_u32_e32 v0, s34, v0
	s_branch .LBB33_4
.LBB33_3:                               ;   in Loop: Header=BB33_4 Depth=1
	s_or_b32 exec_lo, exec_lo, s36
	v_add_nc_u32_e32 v1, 32, v1
	v_cmp_le_u32_e32 vcc_lo, s33, v1
	s_or_b32 s5, vcc_lo, s5
	s_andn2_b32 exec_lo, exec_lo, s5
	s_cbranch_execz .LBB33_51
.LBB33_4:                               ; =>This Loop Header: Depth=1
                                        ;     Child Loop BB33_8 Depth 2
                                        ;       Child Loop BB33_12 Depth 3
                                        ;       Child Loop BB33_34 Depth 3
	;; [unrolled: 1-line block ×3, first 2 shown]
	s_mov_b32 s36, exec_lo
	v_cmpx_gt_i32_e64 s3, v1
	s_cbranch_execz .LBB33_3
; %bb.5:                                ;   in Loop: Header=BB33_4 Depth=1
	v_ashrrev_i32_e32 v2, 31, v1
	v_lshlrev_b64 v[5:6], 2, v[1:2]
	v_add_co_u32 v7, vcc_lo, s24, v5
	v_add_co_ci_u32_e64 v8, null, s25, v6, vcc_lo
	v_add_co_u32 v9, vcc_lo, s26, v5
	v_add_co_ci_u32_e64 v10, null, s27, v6, vcc_lo
	global_load_dword v2, v[7:8], off
	global_load_dword v7, v[9:10], off
	s_waitcnt vmcnt(1)
	v_add_nc_u32_e32 v4, v0, v2
	s_waitcnt vmcnt(0)
	v_subrev_nc_u32_e32 v13, s34, v7
	v_cmp_lt_i32_e32 vcc_lo, v4, v13
	s_and_b32 exec_lo, exec_lo, vcc_lo
	s_cbranch_execz .LBB33_3
; %bb.6:                                ;   in Loop: Header=BB33_4 Depth=1
	v_add_co_u32 v7, vcc_lo, s16, v5
	v_add_co_ci_u32_e64 v8, null, s17, v6, vcc_lo
	v_add_co_u32 v5, vcc_lo, s18, v5
	v_add_co_ci_u32_e64 v6, null, s19, v6, vcc_lo
	global_load_dword v2, v[7:8], off
	s_mov_b32 s37, 0
	global_load_dword v5, v[5:6], off
	s_waitcnt vmcnt(1)
	v_subrev_nc_u32_e32 v6, s35, v2
	s_waitcnt vmcnt(0)
	v_sub_nc_u32_e32 v14, v5, v2
	v_ashrrev_i32_e32 v7, 31, v6
	v_cmp_lt_i32_e64 s0, 0, v14
	v_lshlrev_b64 v[8:9], 2, v[6:7]
	v_lshlrev_b64 v[10:11], 3, v[6:7]
	v_add_co_u32 v15, vcc_lo, s20, v8
	v_add_co_ci_u32_e64 v16, null, s21, v9, vcc_lo
	v_add_co_u32 v17, vcc_lo, s22, v10
	v_add_co_ci_u32_e64 v18, null, s23, v11, vcc_lo
	s_branch .LBB33_8
.LBB33_7:                               ;   in Loop: Header=BB33_8 Depth=2
	s_or_b32 exec_lo, exec_lo, s2
	v_add_nc_u32_e32 v4, 32, v4
	v_cmp_ge_i32_e32 vcc_lo, v4, v13
	s_or_b32 s37, vcc_lo, s37
	s_andn2_b32 exec_lo, exec_lo, s37
	s_cbranch_execz .LBB33_3
.LBB33_8:                               ;   Parent Loop BB33_4 Depth=1
                                        ; =>  This Loop Header: Depth=2
                                        ;       Child Loop BB33_12 Depth 3
                                        ;       Child Loop BB33_34 Depth 3
	;; [unrolled: 1-line block ×3, first 2 shown]
	v_ashrrev_i32_e32 v5, 31, v4
	v_mov_b32_e32 v21, 0
	v_lshlrev_b64 v[7:8], 2, v[4:5]
	v_add_co_u32 v7, vcc_lo, s28, v7
	v_add_co_ci_u32_e64 v8, null, s29, v8, vcc_lo
	global_load_dword v2, v[7:8], off
	s_waitcnt vmcnt(0)
	v_subrev_nc_u32_e32 v7, s34, v2
	v_mov_b32_e32 v2, 0
	v_ashrrev_i32_e32 v8, 31, v7
	v_lshlrev_b64 v[9:10], 2, v[7:8]
	v_add_co_u32 v11, vcc_lo, s8, v9
	v_add_co_ci_u32_e64 v12, null, s9, v10, vcc_lo
	v_add_co_u32 v9, vcc_lo, s10, v9
	v_add_co_ci_u32_e64 v10, null, s11, v10, vcc_lo
	global_load_dword v11, v[11:12], off
	global_load_dword v10, v[9:10], off
	v_mov_b32_e32 v12, 0
	s_waitcnt vmcnt(1)
	v_subrev_nc_u32_e32 v9, s4, v11
	s_waitcnt vmcnt(0)
	v_sub_nc_u32_e32 v19, v10, v11
	v_mov_b32_e32 v10, v2
	s_and_saveexec_b32 s2, s0
	s_cbranch_execz .LBB33_16
; %bb.9:                                ;   in Loop: Header=BB33_8 Depth=2
	v_ashrrev_i32_e32 v10, 31, v9
	v_mov_b32_e32 v12, 0
	v_mov_b32_e32 v2, 0
	s_mov_b32 s38, 0
                                        ; implicit-def: $sgpr39
	v_lshlrev_b64 v[20:21], 2, v[9:10]
	v_lshlrev_b64 v[10:11], 3, v[9:10]
	v_add_co_u32 v20, vcc_lo, s12, v20
	v_add_co_ci_u32_e64 v22, null, s13, v21, vcc_lo
	v_add_co_u32 v23, vcc_lo, s14, v10
	v_add_co_ci_u32_e64 v24, null, s15, v11, vcc_lo
	v_mov_b32_e32 v10, 0
	v_mov_b32_e32 v21, 0
	s_branch .LBB33_12
.LBB33_10:                              ;   in Loop: Header=BB33_12 Depth=3
	s_or_b32 exec_lo, exec_lo, s1
	v_cmp_le_i32_e32 vcc_lo, v25, v26
	v_cmp_ge_i32_e64 s1, v25, v26
	v_add_co_ci_u32_e64 v2, null, 0, v2, vcc_lo
	v_add_co_ci_u32_e64 v10, null, 0, v10, s1
	s_andn2_b32 s1, s39, exec_lo
	v_cmp_ge_i32_e32 vcc_lo, v2, v14
	s_and_b32 s39, vcc_lo, exec_lo
	s_or_b32 s39, s1, s39
.LBB33_11:                              ;   in Loop: Header=BB33_12 Depth=3
	s_or_b32 exec_lo, exec_lo, s40
	s_and_b32 s1, exec_lo, s39
	s_or_b32 s38, s1, s38
	s_andn2_b32 exec_lo, exec_lo, s38
	s_cbranch_execz .LBB33_15
.LBB33_12:                              ;   Parent Loop BB33_4 Depth=1
                                        ;     Parent Loop BB33_8 Depth=2
                                        ; =>    This Inner Loop Header: Depth=3
	s_or_b32 s39, s39, exec_lo
	s_mov_b32 s40, exec_lo
	v_cmpx_lt_i32_e64 v10, v19
	s_cbranch_execz .LBB33_11
; %bb.13:                               ;   in Loop: Header=BB33_12 Depth=3
	v_mov_b32_e32 v11, v3
	v_lshlrev_b64 v[25:26], 2, v[2:3]
	s_mov_b32 s1, exec_lo
	v_lshlrev_b64 v[27:28], 2, v[10:11]
	v_add_co_u32 v25, vcc_lo, v15, v25
	v_add_co_ci_u32_e64 v26, null, v16, v26, vcc_lo
	v_add_co_u32 v27, vcc_lo, v20, v27
	v_add_co_ci_u32_e64 v28, null, v22, v28, vcc_lo
	global_load_dword v25, v[25:26], off
	global_load_dword v26, v[27:28], off
	s_waitcnt vmcnt(1)
	v_subrev_nc_u32_e32 v25, s35, v25
	s_waitcnt vmcnt(0)
	v_subrev_nc_u32_e32 v26, s4, v26
	v_cmpx_eq_u32_e64 v25, v26
	s_cbranch_execz .LBB33_10
; %bb.14:                               ;   in Loop: Header=BB33_12 Depth=3
	v_lshlrev_b64 v[27:28], 3, v[2:3]
	v_lshlrev_b64 v[29:30], 3, v[10:11]
	v_add_co_u32 v27, vcc_lo, v17, v27
	v_add_co_ci_u32_e64 v28, null, v18, v28, vcc_lo
	v_add_co_u32 v29, vcc_lo, v23, v29
	v_add_co_ci_u32_e64 v30, null, v24, v30, vcc_lo
	global_load_dwordx2 v[27:28], v[27:28], off
	global_load_dwordx2 v[29:30], v[29:30], off
	s_waitcnt vmcnt(0)
	v_fmac_f32_e32 v12, v27, v29
	v_fmac_f32_e32 v21, v28, v29
	v_fma_f32 v12, -v28, v30, v12
	v_fmac_f32_e32 v21, v27, v30
	s_branch .LBB33_10
.LBB33_15:                              ;   in Loop: Header=BB33_8 Depth=2
	s_or_b32 exec_lo, exec_lo, s38
.LBB33_16:                              ;   in Loop: Header=BB33_8 Depth=2
	s_or_b32 exec_lo, exec_lo, s2
	v_lshlrev_b64 v[22:23], 3, v[4:5]
	v_cmp_le_i32_e64 s1, v1, v7
	s_mov_b32 s2, exec_lo
	v_add_co_u32 v22, vcc_lo, s30, v22
	v_add_co_ci_u32_e64 v23, null, s31, v23, vcc_lo
	global_load_dwordx2 v[22:23], v[22:23], off
	s_waitcnt vmcnt(0)
	v_sub_f32_e32 v20, v22, v12
	v_sub_f32_e32 v5, v23, v21
	v_cmpx_gt_i32_e64 v1, v7
	s_cbranch_execz .LBB33_18
; %bb.17:                               ;   in Loop: Header=BB33_8 Depth=2
	v_lshlrev_b64 v[11:12], 3, v[7:8]
	v_add_co_u32 v11, vcc_lo, s6, v11
	v_add_co_ci_u32_e64 v12, null, s7, v12, vcc_lo
	global_load_dwordx2 v[11:12], v[11:12], off
	s_waitcnt vmcnt(0)
	v_mul_f32_e32 v21, v12, v12
	v_fmac_f32_e32 v21, v11, v11
	v_div_scale_f32 v22, null, v21, v21, 1.0
	v_div_scale_f32 v25, vcc_lo, 1.0, v21, 1.0
	v_rcp_f32_e32 v23, v22
	v_fma_f32 v24, -v22, v23, 1.0
	v_fmac_f32_e32 v23, v24, v23
	v_mul_f32_e32 v24, v25, v23
	v_fma_f32 v26, -v22, v24, v25
	v_fmac_f32_e32 v24, v26, v23
	v_fma_f32 v22, -v22, v24, v25
	v_div_fmas_f32 v22, v22, v23, v24
	v_mul_f32_e32 v23, v5, v12
	v_mul_f32_e64 v12, v12, -v20
	v_div_fixup_f32 v21, v22, v21, 1.0
	v_fmac_f32_e32 v23, v20, v11
	v_fmac_f32_e32 v12, v5, v11
	v_mul_f32_e32 v20, v23, v21
	v_mul_f32_e32 v5, v12, v21
.LBB33_18:                              ;   in Loop: Header=BB33_8 Depth=2
	s_or_b32 exec_lo, exec_lo, s2
	v_cmp_gt_f32_e32 vcc_lo, 0, v20
                                        ; implicit-def: $vgpr21
	s_mov_b32 s2, exec_lo
	v_cndmask_b32_e64 v11, v20, -v20, vcc_lo
	v_cmp_gt_f32_e32 vcc_lo, 0, v5
	v_cndmask_b32_e64 v12, v5, -v5, vcc_lo
	v_cmpx_ngt_f32_e32 v11, v12
	s_xor_b32 s38, exec_lo, s2
	s_cbranch_execnz .LBB33_21
; %bb.19:                               ;   in Loop: Header=BB33_8 Depth=2
	s_andn2_saveexec_b32 s38, s38
	s_cbranch_execnz .LBB33_24
.LBB33_20:                              ;   in Loop: Header=BB33_8 Depth=2
	s_or_b32 exec_lo, exec_lo, s38
	v_cmp_class_f32_e64 s38, v21, 0x1f8
	s_and_saveexec_b32 s2, s38
	s_cbranch_execz .LBB33_7
	s_branch .LBB33_25
.LBB33_21:                              ;   in Loop: Header=BB33_8 Depth=2
	v_mov_b32_e32 v21, 0
	s_mov_b32 s39, exec_lo
	v_cmpx_neq_f32_e32 0, v5
	s_cbranch_execz .LBB33_23
; %bb.22:                               ;   in Loop: Header=BB33_8 Depth=2
	v_div_scale_f32 v21, null, v12, v12, v11
	v_div_scale_f32 v24, vcc_lo, v11, v12, v11
	v_rcp_f32_e32 v22, v21
	v_fma_f32 v23, -v21, v22, 1.0
	v_fmac_f32_e32 v22, v23, v22
	v_mul_f32_e32 v23, v24, v22
	v_fma_f32 v25, -v21, v23, v24
	v_fmac_f32_e32 v23, v25, v22
	v_fma_f32 v21, -v21, v23, v24
	v_div_fmas_f32 v21, v21, v22, v23
	v_div_fixup_f32 v11, v21, v12, v11
	v_fma_f32 v11, v11, v11, 1.0
	v_mul_f32_e32 v21, 0x4f800000, v11
	v_cmp_gt_f32_e32 vcc_lo, 0xf800000, v11
	v_cndmask_b32_e32 v11, v11, v21, vcc_lo
	v_sqrt_f32_e32 v21, v11
	v_add_nc_u32_e32 v22, -1, v21
	v_add_nc_u32_e32 v23, 1, v21
	v_fma_f32 v24, -v22, v21, v11
	v_fma_f32 v25, -v23, v21, v11
	v_cmp_ge_f32_e64 s2, 0, v24
	v_cndmask_b32_e64 v21, v21, v22, s2
	v_cmp_lt_f32_e64 s2, 0, v25
	v_cndmask_b32_e64 v21, v21, v23, s2
	v_mul_f32_e32 v22, 0x37800000, v21
	v_cndmask_b32_e32 v21, v21, v22, vcc_lo
	v_cmp_class_f32_e64 vcc_lo, v11, 0x260
	v_cndmask_b32_e32 v11, v21, v11, vcc_lo
	v_mul_f32_e32 v21, v12, v11
.LBB33_23:                              ;   in Loop: Header=BB33_8 Depth=2
	s_or_b32 exec_lo, exec_lo, s39
                                        ; implicit-def: $vgpr11
                                        ; implicit-def: $vgpr12
	s_andn2_saveexec_b32 s38, s38
	s_cbranch_execz .LBB33_20
.LBB33_24:                              ;   in Loop: Header=BB33_8 Depth=2
	v_div_scale_f32 v21, null, v11, v11, v12
	v_div_scale_f32 v24, vcc_lo, v12, v11, v12
	v_rcp_f32_e32 v22, v21
	v_fma_f32 v23, -v21, v22, 1.0
	v_fmac_f32_e32 v22, v23, v22
	v_mul_f32_e32 v23, v24, v22
	v_fma_f32 v25, -v21, v23, v24
	v_fmac_f32_e32 v23, v25, v22
	v_fma_f32 v21, -v21, v23, v24
	v_div_fmas_f32 v21, v21, v22, v23
	v_div_fixup_f32 v12, v21, v11, v12
	v_fma_f32 v12, v12, v12, 1.0
	v_mul_f32_e32 v21, 0x4f800000, v12
	v_cmp_gt_f32_e32 vcc_lo, 0xf800000, v12
	v_cndmask_b32_e32 v12, v12, v21, vcc_lo
	v_sqrt_f32_e32 v21, v12
	v_add_nc_u32_e32 v22, -1, v21
	v_add_nc_u32_e32 v23, 1, v21
	v_fma_f32 v24, -v22, v21, v12
	v_fma_f32 v25, -v23, v21, v12
	v_cmp_ge_f32_e64 s2, 0, v24
	v_cndmask_b32_e64 v21, v21, v22, s2
	v_cmp_lt_f32_e64 s2, 0, v25
	v_cndmask_b32_e64 v21, v21, v23, s2
	v_mul_f32_e32 v22, 0x37800000, v21
	v_cndmask_b32_e32 v21, v21, v22, vcc_lo
	v_cmp_class_f32_e64 vcc_lo, v12, 0x260
	v_cndmask_b32_e32 v12, v21, v12, vcc_lo
	v_mul_f32_e32 v21, v11, v12
	s_or_b32 exec_lo, exec_lo, s38
	v_cmp_class_f32_e64 s38, v21, 0x1f8
	s_and_saveexec_b32 s2, s38
	s_cbranch_execz .LBB33_7
.LBB33_25:                              ;   in Loop: Header=BB33_8 Depth=2
	s_mov_b32 s38, 0
                                        ; implicit-def: $vgpr11_vgpr12
	s_and_saveexec_b32 s39, s1
	s_xor_b32 s1, exec_lo, s39
	s_cbranch_execnz .LBB33_28
; %bb.26:                               ;   in Loop: Header=BB33_8 Depth=2
	s_andn2_saveexec_b32 s1, s1
	s_cbranch_execnz .LBB33_41
.LBB33_27:                              ;   in Loop: Header=BB33_8 Depth=2
	s_or_b32 exec_lo, exec_lo, s1
	s_and_b32 exec_lo, exec_lo, s38
	s_cbranch_execz .LBB33_7
	s_branch .LBB33_50
.LBB33_28:                              ;   in Loop: Header=BB33_8 Depth=2
	s_mov_b32 s39, exec_lo
                                        ; implicit-def: $vgpr11_vgpr12
	v_cmpx_ge_i32_e64 v1, v7
	s_xor_b32 s39, exec_lo, s39
	s_cbranch_execz .LBB33_30
; %bb.29:                               ;   in Loop: Header=BB33_8 Depth=2
	v_lshlrev_b64 v[7:8], 3, v[7:8]
	s_mov_b32 s38, exec_lo
                                        ; implicit-def: $vgpr10
                                        ; implicit-def: $vgpr19
                                        ; implicit-def: $vgpr9
	v_add_co_u32 v11, vcc_lo, s6, v7
	v_add_co_ci_u32_e64 v12, null, s7, v8, vcc_lo
	global_store_dword v[11:12], v20, off
                                        ; implicit-def: $vgpr20
.LBB33_30:                              ;   in Loop: Header=BB33_8 Depth=2
	s_andn2_saveexec_b32 s39, s39
	s_cbranch_execz .LBB33_40
; %bb.31:                               ;   in Loop: Header=BB33_8 Depth=2
	s_mov_b32 s41, s38
	s_mov_b32 s40, exec_lo
                                        ; implicit-def: $vgpr11_vgpr12
	v_cmpx_lt_i32_e64 v10, v19
	s_cbranch_execz .LBB33_39
; %bb.32:                               ;   in Loop: Header=BB33_8 Depth=2
	s_mov_b32 s42, 0
                                        ; implicit-def: $sgpr41
                                        ; implicit-def: $sgpr44
                                        ; implicit-def: $sgpr43
	s_inst_prefetch 0x1
	s_branch .LBB33_34
	.p2align	6
.LBB33_33:                              ;   in Loop: Header=BB33_34 Depth=3
	s_or_b32 exec_lo, exec_lo, s45
	s_and_b32 s45, exec_lo, s44
	s_or_b32 s42, s45, s42
	s_andn2_b32 s41, s41, exec_lo
	s_and_b32 s45, s43, exec_lo
	s_or_b32 s41, s41, s45
	s_andn2_b32 exec_lo, exec_lo, s42
	s_cbranch_execz .LBB33_36
.LBB33_34:                              ;   Parent Loop BB33_4 Depth=1
                                        ;     Parent Loop BB33_8 Depth=2
                                        ; =>    This Inner Loop Header: Depth=3
	v_add_nc_u32_e32 v7, v9, v10
	s_or_b32 s43, s43, exec_lo
	s_or_b32 s44, s44, exec_lo
	s_mov_b32 s45, exec_lo
	v_ashrrev_i32_e32 v8, 31, v7
	v_lshlrev_b64 v[11:12], 2, v[7:8]
	v_add_co_u32 v11, vcc_lo, s12, v11
	v_add_co_ci_u32_e64 v12, null, s13, v12, vcc_lo
	global_load_dword v2, v[11:12], off
	s_waitcnt vmcnt(0)
	v_subrev_nc_u32_e32 v2, s4, v2
	v_cmpx_ne_u32_e64 v2, v1
	s_cbranch_execz .LBB33_33
; %bb.35:                               ;   in Loop: Header=BB33_34 Depth=3
	v_add_nc_u32_e32 v10, 1, v10
	s_andn2_b32 s44, s44, exec_lo
	s_andn2_b32 s43, s43, exec_lo
	v_cmp_ge_i32_e32 vcc_lo, v10, v19
	s_and_b32 s46, vcc_lo, exec_lo
	s_or_b32 s44, s44, s46
	s_branch .LBB33_33
.LBB33_36:                              ;   in Loop: Header=BB33_8 Depth=2
	s_inst_prefetch 0x2
	s_or_b32 exec_lo, exec_lo, s42
	s_mov_b32 s42, s38
                                        ; implicit-def: $vgpr11_vgpr12
	s_and_saveexec_b32 s43, s41
	s_xor_b32 s41, exec_lo, s43
	s_cbranch_execz .LBB33_38
; %bb.37:                               ;   in Loop: Header=BB33_8 Depth=2
	v_lshlrev_b64 v[7:8], 3, v[7:8]
	s_or_b32 s42, s38, exec_lo
	v_add_co_u32 v11, vcc_lo, s14, v7
	v_add_co_ci_u32_e64 v12, null, s15, v8, vcc_lo
	global_store_dword v[11:12], v20, off
.LBB33_38:                              ;   in Loop: Header=BB33_8 Depth=2
	s_or_b32 exec_lo, exec_lo, s41
	s_andn2_b32 s41, s38, exec_lo
	s_and_b32 s42, s42, exec_lo
	s_or_b32 s41, s41, s42
.LBB33_39:                              ;   in Loop: Header=BB33_8 Depth=2
	s_or_b32 exec_lo, exec_lo, s40
	s_andn2_b32 s38, s38, exec_lo
	s_and_b32 s40, s41, exec_lo
	s_or_b32 s38, s38, s40
.LBB33_40:                              ;   in Loop: Header=BB33_8 Depth=2
	s_or_b32 exec_lo, exec_lo, s39
	s_and_b32 s38, s38, exec_lo
                                        ; implicit-def: $vgpr20
                                        ; implicit-def: $vgpr7_vgpr8
	s_andn2_saveexec_b32 s1, s1
	s_cbranch_execz .LBB33_27
.LBB33_41:                              ;   in Loop: Header=BB33_8 Depth=2
	s_mov_b32 s40, s38
	s_mov_b32 s39, exec_lo
                                        ; implicit-def: $vgpr11_vgpr12
	v_cmpx_lt_i32_e64 v2, v14
	s_cbranch_execz .LBB33_49
; %bb.42:                               ;   in Loop: Header=BB33_8 Depth=2
	s_mov_b32 s41, 0
                                        ; implicit-def: $sgpr40
                                        ; implicit-def: $sgpr43
                                        ; implicit-def: $sgpr42
	s_inst_prefetch 0x1
	s_branch .LBB33_44
	.p2align	6
.LBB33_43:                              ;   in Loop: Header=BB33_44 Depth=3
	s_or_b32 exec_lo, exec_lo, s44
	s_and_b32 s44, exec_lo, s43
	s_or_b32 s41, s44, s41
	s_andn2_b32 s40, s40, exec_lo
	s_and_b32 s44, s42, exec_lo
	s_or_b32 s40, s40, s44
	s_andn2_b32 exec_lo, exec_lo, s41
	s_cbranch_execz .LBB33_46
.LBB33_44:                              ;   Parent Loop BB33_4 Depth=1
                                        ;     Parent Loop BB33_8 Depth=2
                                        ; =>    This Inner Loop Header: Depth=3
	v_add_nc_u32_e32 v8, v6, v2
	s_or_b32 s42, s42, exec_lo
	s_or_b32 s43, s43, exec_lo
	s_mov_b32 s44, exec_lo
	v_ashrrev_i32_e32 v9, 31, v8
	v_lshlrev_b64 v[10:11], 2, v[8:9]
	v_add_co_u32 v10, vcc_lo, s20, v10
	v_add_co_ci_u32_e64 v11, null, s21, v11, vcc_lo
	global_load_dword v10, v[10:11], off
	s_waitcnt vmcnt(0)
	v_subrev_nc_u32_e32 v10, s35, v10
	v_cmpx_ne_u32_e64 v10, v7
	s_cbranch_execz .LBB33_43
; %bb.45:                               ;   in Loop: Header=BB33_44 Depth=3
	v_add_nc_u32_e32 v2, 1, v2
	s_andn2_b32 s43, s43, exec_lo
	s_andn2_b32 s42, s42, exec_lo
	v_cmp_ge_i32_e32 vcc_lo, v2, v14
	s_and_b32 s45, vcc_lo, exec_lo
	s_or_b32 s43, s43, s45
	s_branch .LBB33_43
.LBB33_46:                              ;   in Loop: Header=BB33_8 Depth=2
	s_inst_prefetch 0x2
	s_or_b32 exec_lo, exec_lo, s41
	s_mov_b32 s41, s38
                                        ; implicit-def: $vgpr11_vgpr12
	s_and_saveexec_b32 s42, s40
	s_xor_b32 s40, exec_lo, s42
	s_cbranch_execz .LBB33_48
; %bb.47:                               ;   in Loop: Header=BB33_8 Depth=2
	v_lshlrev_b64 v[7:8], 3, v[8:9]
	s_or_b32 s41, s38, exec_lo
	v_add_co_u32 v11, vcc_lo, s22, v7
	v_add_co_ci_u32_e64 v12, null, s23, v8, vcc_lo
	global_store_dword v[11:12], v20, off
.LBB33_48:                              ;   in Loop: Header=BB33_8 Depth=2
	s_or_b32 exec_lo, exec_lo, s40
	s_andn2_b32 s40, s38, exec_lo
	s_and_b32 s41, s41, exec_lo
	s_or_b32 s40, s40, s41
.LBB33_49:                              ;   in Loop: Header=BB33_8 Depth=2
	s_or_b32 exec_lo, exec_lo, s39
	s_andn2_b32 s38, s38, exec_lo
	s_and_b32 s39, s40, exec_lo
	s_or_b32 s38, s38, s39
	s_or_b32 exec_lo, exec_lo, s1
	s_and_b32 exec_lo, exec_lo, s38
	s_cbranch_execz .LBB33_7
.LBB33_50:                              ;   in Loop: Header=BB33_8 Depth=2
	global_store_dword v[11:12], v5, off offset:4
	s_branch .LBB33_7
.LBB33_51:
	s_endpgm
	.section	.rodata,"a",@progbits
	.p2align	6, 0x0
	.amdhsa_kernel _ZN9rocsparseL25kernel_correction_no_normILi1024ELi32E21rocsparse_complex_numIfEiiEEvT3_T2_PKS4_S6_PKS3_PKT1_21rocsparse_index_base_S6_S6_S8_PS9_SC_S6_S6_S8_SD_SC_SD_
		.amdhsa_group_segment_fixed_size 0
		.amdhsa_private_segment_fixed_size 0
		.amdhsa_kernarg_size 136
		.amdhsa_user_sgpr_count 6
		.amdhsa_user_sgpr_private_segment_buffer 1
		.amdhsa_user_sgpr_dispatch_ptr 0
		.amdhsa_user_sgpr_queue_ptr 0
		.amdhsa_user_sgpr_kernarg_segment_ptr 1
		.amdhsa_user_sgpr_dispatch_id 0
		.amdhsa_user_sgpr_flat_scratch_init 0
		.amdhsa_user_sgpr_private_segment_size 0
		.amdhsa_wavefront_size32 1
		.amdhsa_uses_dynamic_stack 0
		.amdhsa_system_sgpr_private_segment_wavefront_offset 0
		.amdhsa_system_sgpr_workgroup_id_x 1
		.amdhsa_system_sgpr_workgroup_id_y 0
		.amdhsa_system_sgpr_workgroup_id_z 0
		.amdhsa_system_sgpr_workgroup_info 0
		.amdhsa_system_vgpr_workitem_id 0
		.amdhsa_next_free_vgpr 31
		.amdhsa_next_free_sgpr 47
		.amdhsa_reserve_vcc 1
		.amdhsa_reserve_flat_scratch 0
		.amdhsa_float_round_mode_32 0
		.amdhsa_float_round_mode_16_64 0
		.amdhsa_float_denorm_mode_32 3
		.amdhsa_float_denorm_mode_16_64 3
		.amdhsa_dx10_clamp 1
		.amdhsa_ieee_mode 1
		.amdhsa_fp16_overflow 0
		.amdhsa_workgroup_processor_mode 1
		.amdhsa_memory_ordered 1
		.amdhsa_forward_progress 1
		.amdhsa_shared_vgpr_count 0
		.amdhsa_exception_fp_ieee_invalid_op 0
		.amdhsa_exception_fp_denorm_src 0
		.amdhsa_exception_fp_ieee_div_zero 0
		.amdhsa_exception_fp_ieee_overflow 0
		.amdhsa_exception_fp_ieee_underflow 0
		.amdhsa_exception_fp_ieee_inexact 0
		.amdhsa_exception_int_div_zero 0
	.end_amdhsa_kernel
	.section	.text._ZN9rocsparseL25kernel_correction_no_normILi1024ELi32E21rocsparse_complex_numIfEiiEEvT3_T2_PKS4_S6_PKS3_PKT1_21rocsparse_index_base_S6_S6_S8_PS9_SC_S6_S6_S8_SD_SC_SD_,"axG",@progbits,_ZN9rocsparseL25kernel_correction_no_normILi1024ELi32E21rocsparse_complex_numIfEiiEEvT3_T2_PKS4_S6_PKS3_PKT1_21rocsparse_index_base_S6_S6_S8_PS9_SC_S6_S6_S8_SD_SC_SD_,comdat
.Lfunc_end33:
	.size	_ZN9rocsparseL25kernel_correction_no_normILi1024ELi32E21rocsparse_complex_numIfEiiEEvT3_T2_PKS4_S6_PKS3_PKT1_21rocsparse_index_base_S6_S6_S8_PS9_SC_S6_S6_S8_SD_SC_SD_, .Lfunc_end33-_ZN9rocsparseL25kernel_correction_no_normILi1024ELi32E21rocsparse_complex_numIfEiiEEvT3_T2_PKS4_S6_PKS3_PKT1_21rocsparse_index_base_S6_S6_S8_PS9_SC_S6_S6_S8_SD_SC_SD_
                                        ; -- End function
	.set _ZN9rocsparseL25kernel_correction_no_normILi1024ELi32E21rocsparse_complex_numIfEiiEEvT3_T2_PKS4_S6_PKS3_PKT1_21rocsparse_index_base_S6_S6_S8_PS9_SC_S6_S6_S8_SD_SC_SD_.num_vgpr, 31
	.set _ZN9rocsparseL25kernel_correction_no_normILi1024ELi32E21rocsparse_complex_numIfEiiEEvT3_T2_PKS4_S6_PKS3_PKT1_21rocsparse_index_base_S6_S6_S8_PS9_SC_S6_S6_S8_SD_SC_SD_.num_agpr, 0
	.set _ZN9rocsparseL25kernel_correction_no_normILi1024ELi32E21rocsparse_complex_numIfEiiEEvT3_T2_PKS4_S6_PKS3_PKT1_21rocsparse_index_base_S6_S6_S8_PS9_SC_S6_S6_S8_SD_SC_SD_.numbered_sgpr, 47
	.set _ZN9rocsparseL25kernel_correction_no_normILi1024ELi32E21rocsparse_complex_numIfEiiEEvT3_T2_PKS4_S6_PKS3_PKT1_21rocsparse_index_base_S6_S6_S8_PS9_SC_S6_S6_S8_SD_SC_SD_.num_named_barrier, 0
	.set _ZN9rocsparseL25kernel_correction_no_normILi1024ELi32E21rocsparse_complex_numIfEiiEEvT3_T2_PKS4_S6_PKS3_PKT1_21rocsparse_index_base_S6_S6_S8_PS9_SC_S6_S6_S8_SD_SC_SD_.private_seg_size, 0
	.set _ZN9rocsparseL25kernel_correction_no_normILi1024ELi32E21rocsparse_complex_numIfEiiEEvT3_T2_PKS4_S6_PKS3_PKT1_21rocsparse_index_base_S6_S6_S8_PS9_SC_S6_S6_S8_SD_SC_SD_.uses_vcc, 1
	.set _ZN9rocsparseL25kernel_correction_no_normILi1024ELi32E21rocsparse_complex_numIfEiiEEvT3_T2_PKS4_S6_PKS3_PKT1_21rocsparse_index_base_S6_S6_S8_PS9_SC_S6_S6_S8_SD_SC_SD_.uses_flat_scratch, 0
	.set _ZN9rocsparseL25kernel_correction_no_normILi1024ELi32E21rocsparse_complex_numIfEiiEEvT3_T2_PKS4_S6_PKS3_PKT1_21rocsparse_index_base_S6_S6_S8_PS9_SC_S6_S6_S8_SD_SC_SD_.has_dyn_sized_stack, 0
	.set _ZN9rocsparseL25kernel_correction_no_normILi1024ELi32E21rocsparse_complex_numIfEiiEEvT3_T2_PKS4_S6_PKS3_PKT1_21rocsparse_index_base_S6_S6_S8_PS9_SC_S6_S6_S8_SD_SC_SD_.has_recursion, 0
	.set _ZN9rocsparseL25kernel_correction_no_normILi1024ELi32E21rocsparse_complex_numIfEiiEEvT3_T2_PKS4_S6_PKS3_PKT1_21rocsparse_index_base_S6_S6_S8_PS9_SC_S6_S6_S8_SD_SC_SD_.has_indirect_call, 0
	.section	.AMDGPU.csdata,"",@progbits
; Kernel info:
; codeLenInByte = 2428
; TotalNumSgprs: 49
; NumVgprs: 31
; ScratchSize: 0
; MemoryBound: 0
; FloatMode: 240
; IeeeMode: 1
; LDSByteSize: 0 bytes/workgroup (compile time only)
; SGPRBlocks: 0
; VGPRBlocks: 3
; NumSGPRsForWavesPerEU: 49
; NumVGPRsForWavesPerEU: 31
; Occupancy: 16
; WaveLimiterHint : 1
; COMPUTE_PGM_RSRC2:SCRATCH_EN: 0
; COMPUTE_PGM_RSRC2:USER_SGPR: 6
; COMPUTE_PGM_RSRC2:TRAP_HANDLER: 0
; COMPUTE_PGM_RSRC2:TGID_X_EN: 1
; COMPUTE_PGM_RSRC2:TGID_Y_EN: 0
; COMPUTE_PGM_RSRC2:TGID_Z_EN: 0
; COMPUTE_PGM_RSRC2:TIDIG_COMP_CNT: 0
	.section	.text._ZN9rocsparseL25kernel_correction_no_normILi1024ELi64E21rocsparse_complex_numIfEiiEEvT3_T2_PKS4_S6_PKS3_PKT1_21rocsparse_index_base_S6_S6_S8_PS9_SC_S6_S6_S8_SD_SC_SD_,"axG",@progbits,_ZN9rocsparseL25kernel_correction_no_normILi1024ELi64E21rocsparse_complex_numIfEiiEEvT3_T2_PKS4_S6_PKS3_PKT1_21rocsparse_index_base_S6_S6_S8_PS9_SC_S6_S6_S8_SD_SC_SD_,comdat
	.globl	_ZN9rocsparseL25kernel_correction_no_normILi1024ELi64E21rocsparse_complex_numIfEiiEEvT3_T2_PKS4_S6_PKS3_PKT1_21rocsparse_index_base_S6_S6_S8_PS9_SC_S6_S6_S8_SD_SC_SD_ ; -- Begin function _ZN9rocsparseL25kernel_correction_no_normILi1024ELi64E21rocsparse_complex_numIfEiiEEvT3_T2_PKS4_S6_PKS3_PKT1_21rocsparse_index_base_S6_S6_S8_PS9_SC_S6_S6_S8_SD_SC_SD_
	.p2align	8
	.type	_ZN9rocsparseL25kernel_correction_no_normILi1024ELi64E21rocsparse_complex_numIfEiiEEvT3_T2_PKS4_S6_PKS3_PKT1_21rocsparse_index_base_S6_S6_S8_PS9_SC_S6_S6_S8_SD_SC_SD_,@function
_ZN9rocsparseL25kernel_correction_no_normILi1024ELi64E21rocsparse_complex_numIfEiiEEvT3_T2_PKS4_S6_PKS3_PKT1_21rocsparse_index_base_S6_S6_S8_PS9_SC_S6_S6_S8_SD_SC_SD_: ; @_ZN9rocsparseL25kernel_correction_no_normILi1024ELi64E21rocsparse_complex_numIfEiiEEvT3_T2_PKS4_S6_PKS3_PKT1_21rocsparse_index_base_S6_S6_S8_PS9_SC_S6_S6_S8_SD_SC_SD_
; %bb.0:
	s_load_dword s3, s[4:5], 0x0
	v_lshrrev_b32_e32 v1, 6, v0
	s_lshl_b32 s33, s6, 10
	s_mov_b32 s0, exec_lo
	v_or_b32_e32 v1, s33, v1
	s_waitcnt lgkmcnt(0)
	v_cmpx_gt_i32_e64 s3, v1
	s_cbranch_execz .LBB34_51
; %bb.1:
	s_addk_i32 s33, 0x400
	v_cmp_gt_u32_e32 vcc_lo, s33, v1
	s_and_b32 exec_lo, exec_lo, vcc_lo
	s_cbranch_execz .LBB34_51
; %bb.2:
	s_clause 0x6
	s_load_dword s34, s[4:5], 0x28
	s_load_dwordx8 s[8:15], s[4:5], 0x58
	s_load_dwordx8 s[16:23], s[4:5], 0x30
	;; [unrolled: 1-line block ×3, first 2 shown]
	s_load_dword s35, s[4:5], 0x50
	s_load_dwordx2 s[6:7], s[4:5], 0x80
	s_load_dword s4, s[4:5], 0x78
	v_and_b32_e32 v0, 63, v0
	v_mov_b32_e32 v3, 0
	s_mov_b32 s5, 0
	s_waitcnt lgkmcnt(0)
	v_subrev_nc_u32_e32 v0, s34, v0
	s_branch .LBB34_4
.LBB34_3:                               ;   in Loop: Header=BB34_4 Depth=1
	s_or_b32 exec_lo, exec_lo, s36
	v_add_nc_u32_e32 v1, 16, v1
	v_cmp_le_u32_e32 vcc_lo, s33, v1
	s_or_b32 s5, vcc_lo, s5
	s_andn2_b32 exec_lo, exec_lo, s5
	s_cbranch_execz .LBB34_51
.LBB34_4:                               ; =>This Loop Header: Depth=1
                                        ;     Child Loop BB34_8 Depth 2
                                        ;       Child Loop BB34_12 Depth 3
                                        ;       Child Loop BB34_34 Depth 3
	;; [unrolled: 1-line block ×3, first 2 shown]
	s_mov_b32 s36, exec_lo
	v_cmpx_gt_i32_e64 s3, v1
	s_cbranch_execz .LBB34_3
; %bb.5:                                ;   in Loop: Header=BB34_4 Depth=1
	v_ashrrev_i32_e32 v2, 31, v1
	v_lshlrev_b64 v[5:6], 2, v[1:2]
	v_add_co_u32 v7, vcc_lo, s24, v5
	v_add_co_ci_u32_e64 v8, null, s25, v6, vcc_lo
	v_add_co_u32 v9, vcc_lo, s26, v5
	v_add_co_ci_u32_e64 v10, null, s27, v6, vcc_lo
	global_load_dword v2, v[7:8], off
	global_load_dword v7, v[9:10], off
	s_waitcnt vmcnt(1)
	v_add_nc_u32_e32 v4, v0, v2
	s_waitcnt vmcnt(0)
	v_subrev_nc_u32_e32 v13, s34, v7
	v_cmp_lt_i32_e32 vcc_lo, v4, v13
	s_and_b32 exec_lo, exec_lo, vcc_lo
	s_cbranch_execz .LBB34_3
; %bb.6:                                ;   in Loop: Header=BB34_4 Depth=1
	v_add_co_u32 v7, vcc_lo, s16, v5
	v_add_co_ci_u32_e64 v8, null, s17, v6, vcc_lo
	v_add_co_u32 v5, vcc_lo, s18, v5
	v_add_co_ci_u32_e64 v6, null, s19, v6, vcc_lo
	global_load_dword v2, v[7:8], off
	s_mov_b32 s37, 0
	global_load_dword v5, v[5:6], off
	s_waitcnt vmcnt(1)
	v_subrev_nc_u32_e32 v6, s35, v2
	s_waitcnt vmcnt(0)
	v_sub_nc_u32_e32 v14, v5, v2
	v_ashrrev_i32_e32 v7, 31, v6
	v_cmp_lt_i32_e64 s0, 0, v14
	v_lshlrev_b64 v[8:9], 2, v[6:7]
	v_lshlrev_b64 v[10:11], 3, v[6:7]
	v_add_co_u32 v15, vcc_lo, s20, v8
	v_add_co_ci_u32_e64 v16, null, s21, v9, vcc_lo
	v_add_co_u32 v17, vcc_lo, s22, v10
	v_add_co_ci_u32_e64 v18, null, s23, v11, vcc_lo
	s_branch .LBB34_8
.LBB34_7:                               ;   in Loop: Header=BB34_8 Depth=2
	s_or_b32 exec_lo, exec_lo, s2
	v_add_nc_u32_e32 v4, 64, v4
	v_cmp_ge_i32_e32 vcc_lo, v4, v13
	s_or_b32 s37, vcc_lo, s37
	s_andn2_b32 exec_lo, exec_lo, s37
	s_cbranch_execz .LBB34_3
.LBB34_8:                               ;   Parent Loop BB34_4 Depth=1
                                        ; =>  This Loop Header: Depth=2
                                        ;       Child Loop BB34_12 Depth 3
                                        ;       Child Loop BB34_34 Depth 3
	;; [unrolled: 1-line block ×3, first 2 shown]
	v_ashrrev_i32_e32 v5, 31, v4
	v_mov_b32_e32 v21, 0
	v_lshlrev_b64 v[7:8], 2, v[4:5]
	v_add_co_u32 v7, vcc_lo, s28, v7
	v_add_co_ci_u32_e64 v8, null, s29, v8, vcc_lo
	global_load_dword v2, v[7:8], off
	s_waitcnt vmcnt(0)
	v_subrev_nc_u32_e32 v7, s34, v2
	v_mov_b32_e32 v2, 0
	v_ashrrev_i32_e32 v8, 31, v7
	v_lshlrev_b64 v[9:10], 2, v[7:8]
	v_add_co_u32 v11, vcc_lo, s8, v9
	v_add_co_ci_u32_e64 v12, null, s9, v10, vcc_lo
	v_add_co_u32 v9, vcc_lo, s10, v9
	v_add_co_ci_u32_e64 v10, null, s11, v10, vcc_lo
	global_load_dword v11, v[11:12], off
	global_load_dword v10, v[9:10], off
	v_mov_b32_e32 v12, 0
	s_waitcnt vmcnt(1)
	v_subrev_nc_u32_e32 v9, s4, v11
	s_waitcnt vmcnt(0)
	v_sub_nc_u32_e32 v19, v10, v11
	v_mov_b32_e32 v10, v2
	s_and_saveexec_b32 s2, s0
	s_cbranch_execz .LBB34_16
; %bb.9:                                ;   in Loop: Header=BB34_8 Depth=2
	v_ashrrev_i32_e32 v10, 31, v9
	v_mov_b32_e32 v12, 0
	v_mov_b32_e32 v2, 0
	s_mov_b32 s38, 0
                                        ; implicit-def: $sgpr39
	v_lshlrev_b64 v[20:21], 2, v[9:10]
	v_lshlrev_b64 v[10:11], 3, v[9:10]
	v_add_co_u32 v20, vcc_lo, s12, v20
	v_add_co_ci_u32_e64 v22, null, s13, v21, vcc_lo
	v_add_co_u32 v23, vcc_lo, s14, v10
	v_add_co_ci_u32_e64 v24, null, s15, v11, vcc_lo
	v_mov_b32_e32 v10, 0
	v_mov_b32_e32 v21, 0
	s_branch .LBB34_12
.LBB34_10:                              ;   in Loop: Header=BB34_12 Depth=3
	s_or_b32 exec_lo, exec_lo, s1
	v_cmp_le_i32_e32 vcc_lo, v25, v26
	v_cmp_ge_i32_e64 s1, v25, v26
	v_add_co_ci_u32_e64 v2, null, 0, v2, vcc_lo
	v_add_co_ci_u32_e64 v10, null, 0, v10, s1
	s_andn2_b32 s1, s39, exec_lo
	v_cmp_ge_i32_e32 vcc_lo, v2, v14
	s_and_b32 s39, vcc_lo, exec_lo
	s_or_b32 s39, s1, s39
.LBB34_11:                              ;   in Loop: Header=BB34_12 Depth=3
	s_or_b32 exec_lo, exec_lo, s40
	s_and_b32 s1, exec_lo, s39
	s_or_b32 s38, s1, s38
	s_andn2_b32 exec_lo, exec_lo, s38
	s_cbranch_execz .LBB34_15
.LBB34_12:                              ;   Parent Loop BB34_4 Depth=1
                                        ;     Parent Loop BB34_8 Depth=2
                                        ; =>    This Inner Loop Header: Depth=3
	s_or_b32 s39, s39, exec_lo
	s_mov_b32 s40, exec_lo
	v_cmpx_lt_i32_e64 v10, v19
	s_cbranch_execz .LBB34_11
; %bb.13:                               ;   in Loop: Header=BB34_12 Depth=3
	v_mov_b32_e32 v11, v3
	v_lshlrev_b64 v[25:26], 2, v[2:3]
	s_mov_b32 s1, exec_lo
	v_lshlrev_b64 v[27:28], 2, v[10:11]
	v_add_co_u32 v25, vcc_lo, v15, v25
	v_add_co_ci_u32_e64 v26, null, v16, v26, vcc_lo
	v_add_co_u32 v27, vcc_lo, v20, v27
	v_add_co_ci_u32_e64 v28, null, v22, v28, vcc_lo
	global_load_dword v25, v[25:26], off
	global_load_dword v26, v[27:28], off
	s_waitcnt vmcnt(1)
	v_subrev_nc_u32_e32 v25, s35, v25
	s_waitcnt vmcnt(0)
	v_subrev_nc_u32_e32 v26, s4, v26
	v_cmpx_eq_u32_e64 v25, v26
	s_cbranch_execz .LBB34_10
; %bb.14:                               ;   in Loop: Header=BB34_12 Depth=3
	v_lshlrev_b64 v[27:28], 3, v[2:3]
	v_lshlrev_b64 v[29:30], 3, v[10:11]
	v_add_co_u32 v27, vcc_lo, v17, v27
	v_add_co_ci_u32_e64 v28, null, v18, v28, vcc_lo
	v_add_co_u32 v29, vcc_lo, v23, v29
	v_add_co_ci_u32_e64 v30, null, v24, v30, vcc_lo
	global_load_dwordx2 v[27:28], v[27:28], off
	global_load_dwordx2 v[29:30], v[29:30], off
	s_waitcnt vmcnt(0)
	v_fmac_f32_e32 v12, v27, v29
	v_fmac_f32_e32 v21, v28, v29
	v_fma_f32 v12, -v28, v30, v12
	v_fmac_f32_e32 v21, v27, v30
	s_branch .LBB34_10
.LBB34_15:                              ;   in Loop: Header=BB34_8 Depth=2
	s_or_b32 exec_lo, exec_lo, s38
.LBB34_16:                              ;   in Loop: Header=BB34_8 Depth=2
	s_or_b32 exec_lo, exec_lo, s2
	v_lshlrev_b64 v[22:23], 3, v[4:5]
	v_cmp_le_i32_e64 s1, v1, v7
	s_mov_b32 s2, exec_lo
	v_add_co_u32 v22, vcc_lo, s30, v22
	v_add_co_ci_u32_e64 v23, null, s31, v23, vcc_lo
	global_load_dwordx2 v[22:23], v[22:23], off
	s_waitcnt vmcnt(0)
	v_sub_f32_e32 v20, v22, v12
	v_sub_f32_e32 v5, v23, v21
	v_cmpx_gt_i32_e64 v1, v7
	s_cbranch_execz .LBB34_18
; %bb.17:                               ;   in Loop: Header=BB34_8 Depth=2
	v_lshlrev_b64 v[11:12], 3, v[7:8]
	v_add_co_u32 v11, vcc_lo, s6, v11
	v_add_co_ci_u32_e64 v12, null, s7, v12, vcc_lo
	global_load_dwordx2 v[11:12], v[11:12], off
	s_waitcnt vmcnt(0)
	v_mul_f32_e32 v21, v12, v12
	v_fmac_f32_e32 v21, v11, v11
	v_div_scale_f32 v22, null, v21, v21, 1.0
	v_div_scale_f32 v25, vcc_lo, 1.0, v21, 1.0
	v_rcp_f32_e32 v23, v22
	v_fma_f32 v24, -v22, v23, 1.0
	v_fmac_f32_e32 v23, v24, v23
	v_mul_f32_e32 v24, v25, v23
	v_fma_f32 v26, -v22, v24, v25
	v_fmac_f32_e32 v24, v26, v23
	v_fma_f32 v22, -v22, v24, v25
	v_div_fmas_f32 v22, v22, v23, v24
	v_mul_f32_e32 v23, v5, v12
	v_mul_f32_e64 v12, v12, -v20
	v_div_fixup_f32 v21, v22, v21, 1.0
	v_fmac_f32_e32 v23, v20, v11
	v_fmac_f32_e32 v12, v5, v11
	v_mul_f32_e32 v20, v23, v21
	v_mul_f32_e32 v5, v12, v21
.LBB34_18:                              ;   in Loop: Header=BB34_8 Depth=2
	s_or_b32 exec_lo, exec_lo, s2
	v_cmp_gt_f32_e32 vcc_lo, 0, v20
                                        ; implicit-def: $vgpr21
	s_mov_b32 s2, exec_lo
	v_cndmask_b32_e64 v11, v20, -v20, vcc_lo
	v_cmp_gt_f32_e32 vcc_lo, 0, v5
	v_cndmask_b32_e64 v12, v5, -v5, vcc_lo
	v_cmpx_ngt_f32_e32 v11, v12
	s_xor_b32 s38, exec_lo, s2
	s_cbranch_execnz .LBB34_21
; %bb.19:                               ;   in Loop: Header=BB34_8 Depth=2
	s_andn2_saveexec_b32 s38, s38
	s_cbranch_execnz .LBB34_24
.LBB34_20:                              ;   in Loop: Header=BB34_8 Depth=2
	s_or_b32 exec_lo, exec_lo, s38
	v_cmp_class_f32_e64 s38, v21, 0x1f8
	s_and_saveexec_b32 s2, s38
	s_cbranch_execz .LBB34_7
	s_branch .LBB34_25
.LBB34_21:                              ;   in Loop: Header=BB34_8 Depth=2
	v_mov_b32_e32 v21, 0
	s_mov_b32 s39, exec_lo
	v_cmpx_neq_f32_e32 0, v5
	s_cbranch_execz .LBB34_23
; %bb.22:                               ;   in Loop: Header=BB34_8 Depth=2
	v_div_scale_f32 v21, null, v12, v12, v11
	v_div_scale_f32 v24, vcc_lo, v11, v12, v11
	v_rcp_f32_e32 v22, v21
	v_fma_f32 v23, -v21, v22, 1.0
	v_fmac_f32_e32 v22, v23, v22
	v_mul_f32_e32 v23, v24, v22
	v_fma_f32 v25, -v21, v23, v24
	v_fmac_f32_e32 v23, v25, v22
	v_fma_f32 v21, -v21, v23, v24
	v_div_fmas_f32 v21, v21, v22, v23
	v_div_fixup_f32 v11, v21, v12, v11
	v_fma_f32 v11, v11, v11, 1.0
	v_mul_f32_e32 v21, 0x4f800000, v11
	v_cmp_gt_f32_e32 vcc_lo, 0xf800000, v11
	v_cndmask_b32_e32 v11, v11, v21, vcc_lo
	v_sqrt_f32_e32 v21, v11
	v_add_nc_u32_e32 v22, -1, v21
	v_add_nc_u32_e32 v23, 1, v21
	v_fma_f32 v24, -v22, v21, v11
	v_fma_f32 v25, -v23, v21, v11
	v_cmp_ge_f32_e64 s2, 0, v24
	v_cndmask_b32_e64 v21, v21, v22, s2
	v_cmp_lt_f32_e64 s2, 0, v25
	v_cndmask_b32_e64 v21, v21, v23, s2
	v_mul_f32_e32 v22, 0x37800000, v21
	v_cndmask_b32_e32 v21, v21, v22, vcc_lo
	v_cmp_class_f32_e64 vcc_lo, v11, 0x260
	v_cndmask_b32_e32 v11, v21, v11, vcc_lo
	v_mul_f32_e32 v21, v12, v11
.LBB34_23:                              ;   in Loop: Header=BB34_8 Depth=2
	s_or_b32 exec_lo, exec_lo, s39
                                        ; implicit-def: $vgpr11
                                        ; implicit-def: $vgpr12
	s_andn2_saveexec_b32 s38, s38
	s_cbranch_execz .LBB34_20
.LBB34_24:                              ;   in Loop: Header=BB34_8 Depth=2
	v_div_scale_f32 v21, null, v11, v11, v12
	v_div_scale_f32 v24, vcc_lo, v12, v11, v12
	v_rcp_f32_e32 v22, v21
	v_fma_f32 v23, -v21, v22, 1.0
	v_fmac_f32_e32 v22, v23, v22
	v_mul_f32_e32 v23, v24, v22
	v_fma_f32 v25, -v21, v23, v24
	v_fmac_f32_e32 v23, v25, v22
	v_fma_f32 v21, -v21, v23, v24
	v_div_fmas_f32 v21, v21, v22, v23
	v_div_fixup_f32 v12, v21, v11, v12
	v_fma_f32 v12, v12, v12, 1.0
	v_mul_f32_e32 v21, 0x4f800000, v12
	v_cmp_gt_f32_e32 vcc_lo, 0xf800000, v12
	v_cndmask_b32_e32 v12, v12, v21, vcc_lo
	v_sqrt_f32_e32 v21, v12
	v_add_nc_u32_e32 v22, -1, v21
	v_add_nc_u32_e32 v23, 1, v21
	v_fma_f32 v24, -v22, v21, v12
	v_fma_f32 v25, -v23, v21, v12
	v_cmp_ge_f32_e64 s2, 0, v24
	v_cndmask_b32_e64 v21, v21, v22, s2
	v_cmp_lt_f32_e64 s2, 0, v25
	v_cndmask_b32_e64 v21, v21, v23, s2
	v_mul_f32_e32 v22, 0x37800000, v21
	v_cndmask_b32_e32 v21, v21, v22, vcc_lo
	v_cmp_class_f32_e64 vcc_lo, v12, 0x260
	v_cndmask_b32_e32 v12, v21, v12, vcc_lo
	v_mul_f32_e32 v21, v11, v12
	s_or_b32 exec_lo, exec_lo, s38
	v_cmp_class_f32_e64 s38, v21, 0x1f8
	s_and_saveexec_b32 s2, s38
	s_cbranch_execz .LBB34_7
.LBB34_25:                              ;   in Loop: Header=BB34_8 Depth=2
	s_mov_b32 s38, 0
                                        ; implicit-def: $vgpr11_vgpr12
	s_and_saveexec_b32 s39, s1
	s_xor_b32 s1, exec_lo, s39
	s_cbranch_execnz .LBB34_28
; %bb.26:                               ;   in Loop: Header=BB34_8 Depth=2
	s_andn2_saveexec_b32 s1, s1
	s_cbranch_execnz .LBB34_41
.LBB34_27:                              ;   in Loop: Header=BB34_8 Depth=2
	s_or_b32 exec_lo, exec_lo, s1
	s_and_b32 exec_lo, exec_lo, s38
	s_cbranch_execz .LBB34_7
	s_branch .LBB34_50
.LBB34_28:                              ;   in Loop: Header=BB34_8 Depth=2
	s_mov_b32 s39, exec_lo
                                        ; implicit-def: $vgpr11_vgpr12
	v_cmpx_ge_i32_e64 v1, v7
	s_xor_b32 s39, exec_lo, s39
	s_cbranch_execz .LBB34_30
; %bb.29:                               ;   in Loop: Header=BB34_8 Depth=2
	v_lshlrev_b64 v[7:8], 3, v[7:8]
	s_mov_b32 s38, exec_lo
                                        ; implicit-def: $vgpr10
                                        ; implicit-def: $vgpr19
                                        ; implicit-def: $vgpr9
	v_add_co_u32 v11, vcc_lo, s6, v7
	v_add_co_ci_u32_e64 v12, null, s7, v8, vcc_lo
	global_store_dword v[11:12], v20, off
                                        ; implicit-def: $vgpr20
.LBB34_30:                              ;   in Loop: Header=BB34_8 Depth=2
	s_andn2_saveexec_b32 s39, s39
	s_cbranch_execz .LBB34_40
; %bb.31:                               ;   in Loop: Header=BB34_8 Depth=2
	s_mov_b32 s41, s38
	s_mov_b32 s40, exec_lo
                                        ; implicit-def: $vgpr11_vgpr12
	v_cmpx_lt_i32_e64 v10, v19
	s_cbranch_execz .LBB34_39
; %bb.32:                               ;   in Loop: Header=BB34_8 Depth=2
	s_mov_b32 s42, 0
                                        ; implicit-def: $sgpr41
                                        ; implicit-def: $sgpr44
                                        ; implicit-def: $sgpr43
	s_inst_prefetch 0x1
	s_branch .LBB34_34
	.p2align	6
.LBB34_33:                              ;   in Loop: Header=BB34_34 Depth=3
	s_or_b32 exec_lo, exec_lo, s45
	s_and_b32 s45, exec_lo, s44
	s_or_b32 s42, s45, s42
	s_andn2_b32 s41, s41, exec_lo
	s_and_b32 s45, s43, exec_lo
	s_or_b32 s41, s41, s45
	s_andn2_b32 exec_lo, exec_lo, s42
	s_cbranch_execz .LBB34_36
.LBB34_34:                              ;   Parent Loop BB34_4 Depth=1
                                        ;     Parent Loop BB34_8 Depth=2
                                        ; =>    This Inner Loop Header: Depth=3
	v_add_nc_u32_e32 v7, v9, v10
	s_or_b32 s43, s43, exec_lo
	s_or_b32 s44, s44, exec_lo
	s_mov_b32 s45, exec_lo
	v_ashrrev_i32_e32 v8, 31, v7
	v_lshlrev_b64 v[11:12], 2, v[7:8]
	v_add_co_u32 v11, vcc_lo, s12, v11
	v_add_co_ci_u32_e64 v12, null, s13, v12, vcc_lo
	global_load_dword v2, v[11:12], off
	s_waitcnt vmcnt(0)
	v_subrev_nc_u32_e32 v2, s4, v2
	v_cmpx_ne_u32_e64 v2, v1
	s_cbranch_execz .LBB34_33
; %bb.35:                               ;   in Loop: Header=BB34_34 Depth=3
	v_add_nc_u32_e32 v10, 1, v10
	s_andn2_b32 s44, s44, exec_lo
	s_andn2_b32 s43, s43, exec_lo
	v_cmp_ge_i32_e32 vcc_lo, v10, v19
	s_and_b32 s46, vcc_lo, exec_lo
	s_or_b32 s44, s44, s46
	s_branch .LBB34_33
.LBB34_36:                              ;   in Loop: Header=BB34_8 Depth=2
	s_inst_prefetch 0x2
	s_or_b32 exec_lo, exec_lo, s42
	s_mov_b32 s42, s38
                                        ; implicit-def: $vgpr11_vgpr12
	s_and_saveexec_b32 s43, s41
	s_xor_b32 s41, exec_lo, s43
	s_cbranch_execz .LBB34_38
; %bb.37:                               ;   in Loop: Header=BB34_8 Depth=2
	v_lshlrev_b64 v[7:8], 3, v[7:8]
	s_or_b32 s42, s38, exec_lo
	v_add_co_u32 v11, vcc_lo, s14, v7
	v_add_co_ci_u32_e64 v12, null, s15, v8, vcc_lo
	global_store_dword v[11:12], v20, off
.LBB34_38:                              ;   in Loop: Header=BB34_8 Depth=2
	s_or_b32 exec_lo, exec_lo, s41
	s_andn2_b32 s41, s38, exec_lo
	s_and_b32 s42, s42, exec_lo
	s_or_b32 s41, s41, s42
.LBB34_39:                              ;   in Loop: Header=BB34_8 Depth=2
	s_or_b32 exec_lo, exec_lo, s40
	s_andn2_b32 s38, s38, exec_lo
	s_and_b32 s40, s41, exec_lo
	s_or_b32 s38, s38, s40
.LBB34_40:                              ;   in Loop: Header=BB34_8 Depth=2
	s_or_b32 exec_lo, exec_lo, s39
	s_and_b32 s38, s38, exec_lo
                                        ; implicit-def: $vgpr20
                                        ; implicit-def: $vgpr7_vgpr8
	s_andn2_saveexec_b32 s1, s1
	s_cbranch_execz .LBB34_27
.LBB34_41:                              ;   in Loop: Header=BB34_8 Depth=2
	s_mov_b32 s40, s38
	s_mov_b32 s39, exec_lo
                                        ; implicit-def: $vgpr11_vgpr12
	v_cmpx_lt_i32_e64 v2, v14
	s_cbranch_execz .LBB34_49
; %bb.42:                               ;   in Loop: Header=BB34_8 Depth=2
	s_mov_b32 s41, 0
                                        ; implicit-def: $sgpr40
                                        ; implicit-def: $sgpr43
                                        ; implicit-def: $sgpr42
	s_inst_prefetch 0x1
	s_branch .LBB34_44
	.p2align	6
.LBB34_43:                              ;   in Loop: Header=BB34_44 Depth=3
	s_or_b32 exec_lo, exec_lo, s44
	s_and_b32 s44, exec_lo, s43
	s_or_b32 s41, s44, s41
	s_andn2_b32 s40, s40, exec_lo
	s_and_b32 s44, s42, exec_lo
	s_or_b32 s40, s40, s44
	s_andn2_b32 exec_lo, exec_lo, s41
	s_cbranch_execz .LBB34_46
.LBB34_44:                              ;   Parent Loop BB34_4 Depth=1
                                        ;     Parent Loop BB34_8 Depth=2
                                        ; =>    This Inner Loop Header: Depth=3
	v_add_nc_u32_e32 v8, v6, v2
	s_or_b32 s42, s42, exec_lo
	s_or_b32 s43, s43, exec_lo
	s_mov_b32 s44, exec_lo
	v_ashrrev_i32_e32 v9, 31, v8
	v_lshlrev_b64 v[10:11], 2, v[8:9]
	v_add_co_u32 v10, vcc_lo, s20, v10
	v_add_co_ci_u32_e64 v11, null, s21, v11, vcc_lo
	global_load_dword v10, v[10:11], off
	s_waitcnt vmcnt(0)
	v_subrev_nc_u32_e32 v10, s35, v10
	v_cmpx_ne_u32_e64 v10, v7
	s_cbranch_execz .LBB34_43
; %bb.45:                               ;   in Loop: Header=BB34_44 Depth=3
	v_add_nc_u32_e32 v2, 1, v2
	s_andn2_b32 s43, s43, exec_lo
	s_andn2_b32 s42, s42, exec_lo
	v_cmp_ge_i32_e32 vcc_lo, v2, v14
	s_and_b32 s45, vcc_lo, exec_lo
	s_or_b32 s43, s43, s45
	s_branch .LBB34_43
.LBB34_46:                              ;   in Loop: Header=BB34_8 Depth=2
	s_inst_prefetch 0x2
	s_or_b32 exec_lo, exec_lo, s41
	s_mov_b32 s41, s38
                                        ; implicit-def: $vgpr11_vgpr12
	s_and_saveexec_b32 s42, s40
	s_xor_b32 s40, exec_lo, s42
	s_cbranch_execz .LBB34_48
; %bb.47:                               ;   in Loop: Header=BB34_8 Depth=2
	v_lshlrev_b64 v[7:8], 3, v[8:9]
	s_or_b32 s41, s38, exec_lo
	v_add_co_u32 v11, vcc_lo, s22, v7
	v_add_co_ci_u32_e64 v12, null, s23, v8, vcc_lo
	global_store_dword v[11:12], v20, off
.LBB34_48:                              ;   in Loop: Header=BB34_8 Depth=2
	s_or_b32 exec_lo, exec_lo, s40
	s_andn2_b32 s40, s38, exec_lo
	s_and_b32 s41, s41, exec_lo
	s_or_b32 s40, s40, s41
.LBB34_49:                              ;   in Loop: Header=BB34_8 Depth=2
	s_or_b32 exec_lo, exec_lo, s39
	s_andn2_b32 s38, s38, exec_lo
	s_and_b32 s39, s40, exec_lo
	s_or_b32 s38, s38, s39
	s_or_b32 exec_lo, exec_lo, s1
	s_and_b32 exec_lo, exec_lo, s38
	s_cbranch_execz .LBB34_7
.LBB34_50:                              ;   in Loop: Header=BB34_8 Depth=2
	global_store_dword v[11:12], v5, off offset:4
	s_branch .LBB34_7
.LBB34_51:
	s_endpgm
	.section	.rodata,"a",@progbits
	.p2align	6, 0x0
	.amdhsa_kernel _ZN9rocsparseL25kernel_correction_no_normILi1024ELi64E21rocsparse_complex_numIfEiiEEvT3_T2_PKS4_S6_PKS3_PKT1_21rocsparse_index_base_S6_S6_S8_PS9_SC_S6_S6_S8_SD_SC_SD_
		.amdhsa_group_segment_fixed_size 0
		.amdhsa_private_segment_fixed_size 0
		.amdhsa_kernarg_size 136
		.amdhsa_user_sgpr_count 6
		.amdhsa_user_sgpr_private_segment_buffer 1
		.amdhsa_user_sgpr_dispatch_ptr 0
		.amdhsa_user_sgpr_queue_ptr 0
		.amdhsa_user_sgpr_kernarg_segment_ptr 1
		.amdhsa_user_sgpr_dispatch_id 0
		.amdhsa_user_sgpr_flat_scratch_init 0
		.amdhsa_user_sgpr_private_segment_size 0
		.amdhsa_wavefront_size32 1
		.amdhsa_uses_dynamic_stack 0
		.amdhsa_system_sgpr_private_segment_wavefront_offset 0
		.amdhsa_system_sgpr_workgroup_id_x 1
		.amdhsa_system_sgpr_workgroup_id_y 0
		.amdhsa_system_sgpr_workgroup_id_z 0
		.amdhsa_system_sgpr_workgroup_info 0
		.amdhsa_system_vgpr_workitem_id 0
		.amdhsa_next_free_vgpr 31
		.amdhsa_next_free_sgpr 47
		.amdhsa_reserve_vcc 1
		.amdhsa_reserve_flat_scratch 0
		.amdhsa_float_round_mode_32 0
		.amdhsa_float_round_mode_16_64 0
		.amdhsa_float_denorm_mode_32 3
		.amdhsa_float_denorm_mode_16_64 3
		.amdhsa_dx10_clamp 1
		.amdhsa_ieee_mode 1
		.amdhsa_fp16_overflow 0
		.amdhsa_workgroup_processor_mode 1
		.amdhsa_memory_ordered 1
		.amdhsa_forward_progress 1
		.amdhsa_shared_vgpr_count 0
		.amdhsa_exception_fp_ieee_invalid_op 0
		.amdhsa_exception_fp_denorm_src 0
		.amdhsa_exception_fp_ieee_div_zero 0
		.amdhsa_exception_fp_ieee_overflow 0
		.amdhsa_exception_fp_ieee_underflow 0
		.amdhsa_exception_fp_ieee_inexact 0
		.amdhsa_exception_int_div_zero 0
	.end_amdhsa_kernel
	.section	.text._ZN9rocsparseL25kernel_correction_no_normILi1024ELi64E21rocsparse_complex_numIfEiiEEvT3_T2_PKS4_S6_PKS3_PKT1_21rocsparse_index_base_S6_S6_S8_PS9_SC_S6_S6_S8_SD_SC_SD_,"axG",@progbits,_ZN9rocsparseL25kernel_correction_no_normILi1024ELi64E21rocsparse_complex_numIfEiiEEvT3_T2_PKS4_S6_PKS3_PKT1_21rocsparse_index_base_S6_S6_S8_PS9_SC_S6_S6_S8_SD_SC_SD_,comdat
.Lfunc_end34:
	.size	_ZN9rocsparseL25kernel_correction_no_normILi1024ELi64E21rocsparse_complex_numIfEiiEEvT3_T2_PKS4_S6_PKS3_PKT1_21rocsparse_index_base_S6_S6_S8_PS9_SC_S6_S6_S8_SD_SC_SD_, .Lfunc_end34-_ZN9rocsparseL25kernel_correction_no_normILi1024ELi64E21rocsparse_complex_numIfEiiEEvT3_T2_PKS4_S6_PKS3_PKT1_21rocsparse_index_base_S6_S6_S8_PS9_SC_S6_S6_S8_SD_SC_SD_
                                        ; -- End function
	.set _ZN9rocsparseL25kernel_correction_no_normILi1024ELi64E21rocsparse_complex_numIfEiiEEvT3_T2_PKS4_S6_PKS3_PKT1_21rocsparse_index_base_S6_S6_S8_PS9_SC_S6_S6_S8_SD_SC_SD_.num_vgpr, 31
	.set _ZN9rocsparseL25kernel_correction_no_normILi1024ELi64E21rocsparse_complex_numIfEiiEEvT3_T2_PKS4_S6_PKS3_PKT1_21rocsparse_index_base_S6_S6_S8_PS9_SC_S6_S6_S8_SD_SC_SD_.num_agpr, 0
	.set _ZN9rocsparseL25kernel_correction_no_normILi1024ELi64E21rocsparse_complex_numIfEiiEEvT3_T2_PKS4_S6_PKS3_PKT1_21rocsparse_index_base_S6_S6_S8_PS9_SC_S6_S6_S8_SD_SC_SD_.numbered_sgpr, 47
	.set _ZN9rocsparseL25kernel_correction_no_normILi1024ELi64E21rocsparse_complex_numIfEiiEEvT3_T2_PKS4_S6_PKS3_PKT1_21rocsparse_index_base_S6_S6_S8_PS9_SC_S6_S6_S8_SD_SC_SD_.num_named_barrier, 0
	.set _ZN9rocsparseL25kernel_correction_no_normILi1024ELi64E21rocsparse_complex_numIfEiiEEvT3_T2_PKS4_S6_PKS3_PKT1_21rocsparse_index_base_S6_S6_S8_PS9_SC_S6_S6_S8_SD_SC_SD_.private_seg_size, 0
	.set _ZN9rocsparseL25kernel_correction_no_normILi1024ELi64E21rocsparse_complex_numIfEiiEEvT3_T2_PKS4_S6_PKS3_PKT1_21rocsparse_index_base_S6_S6_S8_PS9_SC_S6_S6_S8_SD_SC_SD_.uses_vcc, 1
	.set _ZN9rocsparseL25kernel_correction_no_normILi1024ELi64E21rocsparse_complex_numIfEiiEEvT3_T2_PKS4_S6_PKS3_PKT1_21rocsparse_index_base_S6_S6_S8_PS9_SC_S6_S6_S8_SD_SC_SD_.uses_flat_scratch, 0
	.set _ZN9rocsparseL25kernel_correction_no_normILi1024ELi64E21rocsparse_complex_numIfEiiEEvT3_T2_PKS4_S6_PKS3_PKT1_21rocsparse_index_base_S6_S6_S8_PS9_SC_S6_S6_S8_SD_SC_SD_.has_dyn_sized_stack, 0
	.set _ZN9rocsparseL25kernel_correction_no_normILi1024ELi64E21rocsparse_complex_numIfEiiEEvT3_T2_PKS4_S6_PKS3_PKT1_21rocsparse_index_base_S6_S6_S8_PS9_SC_S6_S6_S8_SD_SC_SD_.has_recursion, 0
	.set _ZN9rocsparseL25kernel_correction_no_normILi1024ELi64E21rocsparse_complex_numIfEiiEEvT3_T2_PKS4_S6_PKS3_PKT1_21rocsparse_index_base_S6_S6_S8_PS9_SC_S6_S6_S8_SD_SC_SD_.has_indirect_call, 0
	.section	.AMDGPU.csdata,"",@progbits
; Kernel info:
; codeLenInByte = 2428
; TotalNumSgprs: 49
; NumVgprs: 31
; ScratchSize: 0
; MemoryBound: 0
; FloatMode: 240
; IeeeMode: 1
; LDSByteSize: 0 bytes/workgroup (compile time only)
; SGPRBlocks: 0
; VGPRBlocks: 3
; NumSGPRsForWavesPerEU: 49
; NumVGPRsForWavesPerEU: 31
; Occupancy: 16
; WaveLimiterHint : 1
; COMPUTE_PGM_RSRC2:SCRATCH_EN: 0
; COMPUTE_PGM_RSRC2:USER_SGPR: 6
; COMPUTE_PGM_RSRC2:TRAP_HANDLER: 0
; COMPUTE_PGM_RSRC2:TGID_X_EN: 1
; COMPUTE_PGM_RSRC2:TGID_Y_EN: 0
; COMPUTE_PGM_RSRC2:TGID_Z_EN: 0
; COMPUTE_PGM_RSRC2:TIDIG_COMP_CNT: 0
	.section	.text._ZN9rocsparseL17kernel_correctionILi1024ELi1E21rocsparse_complex_numIfEiiEEvT3_T2_PKS4_S6_PKS3_PKT1_21rocsparse_index_base_S6_S6_S8_PS9_SC_S6_S6_S8_SD_SC_SD_PNS_15floating_traitsIS9_E6data_tEPKSG_,"axG",@progbits,_ZN9rocsparseL17kernel_correctionILi1024ELi1E21rocsparse_complex_numIfEiiEEvT3_T2_PKS4_S6_PKS3_PKT1_21rocsparse_index_base_S6_S6_S8_PS9_SC_S6_S6_S8_SD_SC_SD_PNS_15floating_traitsIS9_E6data_tEPKSG_,comdat
	.globl	_ZN9rocsparseL17kernel_correctionILi1024ELi1E21rocsparse_complex_numIfEiiEEvT3_T2_PKS4_S6_PKS3_PKT1_21rocsparse_index_base_S6_S6_S8_PS9_SC_S6_S6_S8_SD_SC_SD_PNS_15floating_traitsIS9_E6data_tEPKSG_ ; -- Begin function _ZN9rocsparseL17kernel_correctionILi1024ELi1E21rocsparse_complex_numIfEiiEEvT3_T2_PKS4_S6_PKS3_PKT1_21rocsparse_index_base_S6_S6_S8_PS9_SC_S6_S6_S8_SD_SC_SD_PNS_15floating_traitsIS9_E6data_tEPKSG_
	.p2align	8
	.type	_ZN9rocsparseL17kernel_correctionILi1024ELi1E21rocsparse_complex_numIfEiiEEvT3_T2_PKS4_S6_PKS3_PKT1_21rocsparse_index_base_S6_S6_S8_PS9_SC_S6_S6_S8_SD_SC_SD_PNS_15floating_traitsIS9_E6data_tEPKSG_,@function
_ZN9rocsparseL17kernel_correctionILi1024ELi1E21rocsparse_complex_numIfEiiEEvT3_T2_PKS4_S6_PKS3_PKT1_21rocsparse_index_base_S6_S6_S8_PS9_SC_S6_S6_S8_SD_SC_SD_PNS_15floating_traitsIS9_E6data_tEPKSG_: ; @_ZN9rocsparseL17kernel_correctionILi1024ELi1E21rocsparse_complex_numIfEiiEEvT3_T2_PKS4_S6_PKS3_PKT1_21rocsparse_index_base_S6_S6_S8_PS9_SC_S6_S6_S8_SD_SC_SD_PNS_15floating_traitsIS9_E6data_tEPKSG_
; %bb.0:
	s_load_dword s34, s[4:5], 0x0
	s_lshl_b32 s36, s6, 10
	v_mov_b32_e32 v16, 0
	v_or_b32_e32 v1, s36, v0
	s_mov_b32 s33, exec_lo
	s_waitcnt lgkmcnt(0)
	v_cmpx_gt_i32_e64 s34, v1
	s_cbranch_execz .LBB35_81
; %bb.1:
	v_mov_b32_e32 v16, 0
	s_addk_i32 s36, 0x400
	s_mov_b32 s35, exec_lo
	v_cmpx_gt_u32_e64 s36, v1
	s_cbranch_execz .LBB35_80
; %bb.2:
	s_clause 0x6
	s_load_dwordx8 s[8:15], s[4:5], 0x58
	s_load_dwordx8 s[16:23], s[4:5], 0x30
	;; [unrolled: 1-line block ×3, first 2 shown]
	s_load_dword s37, s[4:5], 0x28
	s_load_dword s38, s[4:5], 0x50
	s_load_dwordx2 s[6:7], s[4:5], 0x80
	s_load_dword s39, s[4:5], 0x78
	v_mov_b32_e32 v3, 0
	v_mov_b32_e32 v16, 0
	s_mov_b32 s40, 0
	s_branch .LBB35_6
.LBB35_3:                               ;   in Loop: Header=BB35_6 Depth=1
	s_or_b32 exec_lo, exec_lo, s43
.LBB35_4:                               ;   in Loop: Header=BB35_6 Depth=1
	s_or_b32 exec_lo, exec_lo, s42
.LBB35_5:                               ;   in Loop: Header=BB35_6 Depth=1
	s_or_b32 exec_lo, exec_lo, s41
	v_add_nc_u32_e32 v1, 0x400, v1
	v_cmp_le_u32_e32 vcc_lo, s36, v1
	s_or_b32 s40, vcc_lo, s40
	s_andn2_b32 exec_lo, exec_lo, s40
	s_cbranch_execz .LBB35_79
.LBB35_6:                               ; =>This Loop Header: Depth=1
                                        ;     Child Loop BB35_10 Depth 2
                                        ;       Child Loop BB35_14 Depth 3
                                        ;       Child Loop BB35_36 Depth 3
	;; [unrolled: 1-line block ×5, first 2 shown]
	s_mov_b32 s41, exec_lo
	v_cmpx_gt_i32_e64 s34, v1
	s_cbranch_execz .LBB35_5
; %bb.7:                                ;   in Loop: Header=BB35_6 Depth=1
	v_ashrrev_i32_e32 v2, 31, v1
	s_mov_b32 s42, exec_lo
	v_lshlrev_b64 v[4:5], 2, v[1:2]
	s_waitcnt lgkmcnt(0)
	v_add_co_u32 v6, vcc_lo, s24, v4
	v_add_co_ci_u32_e64 v7, null, s25, v5, vcc_lo
	v_add_co_u32 v8, vcc_lo, s26, v4
	v_add_co_ci_u32_e64 v9, null, s27, v5, vcc_lo
	global_load_dword v2, v[6:7], off
	global_load_dword v6, v[8:9], off
	s_waitcnt vmcnt(0)
	v_cmpx_lt_i32_e64 v2, v6
	s_cbranch_execz .LBB35_4
; %bb.8:                                ;   in Loop: Header=BB35_6 Depth=1
	v_add_co_u32 v7, vcc_lo, s16, v4
	v_add_co_ci_u32_e64 v8, null, s17, v5, vcc_lo
	v_add_co_u32 v4, vcc_lo, s18, v4
	v_add_co_ci_u32_e64 v5, null, s19, v5, vcc_lo
	global_load_dword v9, v[7:8], off
	v_subrev_nc_u32_e32 v17, s37, v6
	v_subrev_nc_u32_e32 v6, s37, v2
	global_load_dword v10, v[4:5], off
	s_mov_b32 s43, 0
	s_waitcnt vmcnt(1)
	v_subrev_nc_u32_e32 v4, s38, v9
	s_waitcnt vmcnt(0)
	v_sub_nc_u32_e32 v18, v10, v9
	v_ashrrev_i32_e32 v5, 31, v4
	v_cmp_lt_i32_e64 s0, 0, v18
	v_lshlrev_b64 v[7:8], 2, v[4:5]
	v_lshlrev_b64 v[9:10], 3, v[4:5]
	v_add_co_u32 v5, vcc_lo, s20, v7
	v_add_co_ci_u32_e64 v19, null, s21, v8, vcc_lo
	v_add_co_u32 v20, vcc_lo, s22, v9
	v_add_co_ci_u32_e64 v21, null, s23, v10, vcc_lo
	s_branch .LBB35_10
.LBB35_9:                               ;   in Loop: Header=BB35_10 Depth=2
	s_or_b32 exec_lo, exec_lo, s3
	v_add_nc_u32_e32 v6, 1, v6
	v_cmp_nlg_f32_e64 s2, 0x7f800000, |v14|
	v_cmp_gt_f32_e32 vcc_lo, v16, v14
	v_cmp_ge_i32_e64 s1, v6, v17
	s_or_b32 vcc_lo, s2, vcc_lo
	v_cndmask_b32_e32 v16, v14, v16, vcc_lo
	s_or_b32 s43, s1, s43
	s_andn2_b32 exec_lo, exec_lo, s43
	s_cbranch_execz .LBB35_3
.LBB35_10:                              ;   Parent Loop BB35_6 Depth=1
                                        ; =>  This Loop Header: Depth=2
                                        ;       Child Loop BB35_14 Depth 3
                                        ;       Child Loop BB35_36 Depth 3
	;; [unrolled: 1-line block ×5, first 2 shown]
	v_ashrrev_i32_e32 v7, 31, v6
	v_mov_b32_e32 v25, 0
	v_mov_b32_e32 v26, 0
	v_lshlrev_b64 v[8:9], 2, v[6:7]
	v_add_co_u32 v8, vcc_lo, s28, v8
	v_add_co_ci_u32_e64 v9, null, s29, v9, vcc_lo
	global_load_dword v2, v[8:9], off
	s_waitcnt vmcnt(0)
	v_subrev_nc_u32_e32 v8, s37, v2
	v_mov_b32_e32 v2, 0
	v_ashrrev_i32_e32 v9, 31, v8
	v_lshlrev_b64 v[10:11], 2, v[8:9]
	v_add_co_u32 v12, vcc_lo, s8, v10
	v_add_co_ci_u32_e64 v13, null, s9, v11, vcc_lo
	v_add_co_u32 v10, vcc_lo, s10, v10
	v_add_co_ci_u32_e64 v11, null, s11, v11, vcc_lo
	global_load_dword v12, v[12:13], off
	global_load_dword v11, v[10:11], off
	s_waitcnt vmcnt(1)
	v_subrev_nc_u32_e32 v10, s39, v12
	s_waitcnt vmcnt(0)
	v_sub_nc_u32_e32 v23, v11, v12
	v_mov_b32_e32 v11, v2
	s_and_saveexec_b32 s2, s0
	s_cbranch_execz .LBB35_18
; %bb.11:                               ;   in Loop: Header=BB35_10 Depth=2
	v_ashrrev_i32_e32 v11, 31, v10
	v_mov_b32_e32 v25, 0
	v_mov_b32_e32 v2, 0
	;; [unrolled: 1-line block ×3, first 2 shown]
	s_mov_b32 s3, 0
	v_lshlrev_b64 v[13:14], 2, v[10:11]
	v_lshlrev_b64 v[11:12], 3, v[10:11]
                                        ; implicit-def: $sgpr44
	v_add_co_u32 v13, vcc_lo, s12, v13
	v_add_co_ci_u32_e64 v14, null, s13, v14, vcc_lo
	v_add_co_u32 v15, vcc_lo, s14, v11
	v_add_co_ci_u32_e64 v22, null, s15, v12, vcc_lo
	v_mov_b32_e32 v11, 0
	s_branch .LBB35_14
.LBB35_12:                              ;   in Loop: Header=BB35_14 Depth=3
	s_or_b32 exec_lo, exec_lo, s1
	v_cmp_le_i32_e32 vcc_lo, v24, v27
	v_cmp_ge_i32_e64 s1, v24, v27
	v_add_co_ci_u32_e64 v2, null, 0, v2, vcc_lo
	v_add_co_ci_u32_e64 v11, null, 0, v11, s1
	s_andn2_b32 s1, s44, exec_lo
	v_cmp_ge_i32_e32 vcc_lo, v2, v18
	s_and_b32 s44, vcc_lo, exec_lo
	s_or_b32 s44, s1, s44
.LBB35_13:                              ;   in Loop: Header=BB35_14 Depth=3
	s_or_b32 exec_lo, exec_lo, s45
	s_and_b32 s1, exec_lo, s44
	s_or_b32 s3, s1, s3
	s_andn2_b32 exec_lo, exec_lo, s3
	s_cbranch_execz .LBB35_17
.LBB35_14:                              ;   Parent Loop BB35_6 Depth=1
                                        ;     Parent Loop BB35_10 Depth=2
                                        ; =>    This Inner Loop Header: Depth=3
	s_or_b32 s44, s44, exec_lo
	s_mov_b32 s45, exec_lo
	v_cmpx_lt_i32_e64 v11, v23
	s_cbranch_execz .LBB35_13
; %bb.15:                               ;   in Loop: Header=BB35_14 Depth=3
	v_mov_b32_e32 v12, v3
	v_lshlrev_b64 v[27:28], 2, v[2:3]
	s_mov_b32 s1, exec_lo
	v_lshlrev_b64 v[29:30], 2, v[11:12]
	v_add_co_u32 v27, vcc_lo, v5, v27
	v_add_co_ci_u32_e64 v28, null, v19, v28, vcc_lo
	v_add_co_u32 v29, vcc_lo, v13, v29
	v_add_co_ci_u32_e64 v30, null, v14, v30, vcc_lo
	global_load_dword v24, v[27:28], off
	global_load_dword v27, v[29:30], off
	s_waitcnt vmcnt(1)
	v_subrev_nc_u32_e32 v24, s38, v24
	s_waitcnt vmcnt(0)
	v_subrev_nc_u32_e32 v27, s39, v27
	v_cmpx_eq_u32_e64 v24, v27
	s_cbranch_execz .LBB35_12
; %bb.16:                               ;   in Loop: Header=BB35_14 Depth=3
	v_lshlrev_b64 v[28:29], 3, v[2:3]
	v_lshlrev_b64 v[30:31], 3, v[11:12]
	v_add_co_u32 v28, vcc_lo, v20, v28
	v_add_co_ci_u32_e64 v29, null, v21, v29, vcc_lo
	v_add_co_u32 v30, vcc_lo, v15, v30
	v_add_co_ci_u32_e64 v31, null, v22, v31, vcc_lo
	global_load_dwordx2 v[28:29], v[28:29], off
	global_load_dwordx2 v[30:31], v[30:31], off
	s_waitcnt vmcnt(0)
	v_fmac_f32_e32 v25, v28, v30
	v_fmac_f32_e32 v26, v29, v30
	v_fma_f32 v25, -v29, v31, v25
	v_fmac_f32_e32 v26, v28, v31
	s_branch .LBB35_12
.LBB35_17:                              ;   in Loop: Header=BB35_10 Depth=2
	s_or_b32 exec_lo, exec_lo, s3
.LBB35_18:                              ;   in Loop: Header=BB35_10 Depth=2
	s_or_b32 exec_lo, exec_lo, s2
	v_lshlrev_b64 v[12:13], 3, v[6:7]
	v_cmp_le_i32_e64 s2, v1, v8
	s_mov_b32 s1, exec_lo
	v_add_co_u32 v12, vcc_lo, s30, v12
	v_add_co_ci_u32_e64 v13, null, s31, v13, vcc_lo
	global_load_dwordx2 v[12:13], v[12:13], off
	s_waitcnt vmcnt(0)
	v_sub_f32_e32 v24, v12, v25
	v_sub_f32_e32 v22, v13, v26
	v_cmpx_gt_i32_e64 v1, v8
	s_cbranch_execz .LBB35_20
; %bb.19:                               ;   in Loop: Header=BB35_10 Depth=2
	v_lshlrev_b64 v[14:15], 3, v[8:9]
	v_add_co_u32 v14, vcc_lo, s6, v14
	v_add_co_ci_u32_e64 v15, null, s7, v15, vcc_lo
	global_load_dwordx2 v[14:15], v[14:15], off
	s_waitcnt vmcnt(0)
	v_mul_f32_e32 v7, v15, v15
	v_fmac_f32_e32 v7, v14, v14
	v_div_scale_f32 v27, null, v7, v7, 1.0
	v_div_scale_f32 v30, vcc_lo, 1.0, v7, 1.0
	v_rcp_f32_e32 v28, v27
	v_fma_f32 v29, -v27, v28, 1.0
	v_fmac_f32_e32 v28, v29, v28
	v_mul_f32_e32 v29, v30, v28
	v_fma_f32 v31, -v27, v29, v30
	v_fmac_f32_e32 v29, v31, v28
	v_fma_f32 v27, -v27, v29, v30
	v_div_fmas_f32 v27, v27, v28, v29
	v_mul_f32_e32 v28, v22, v15
	v_mul_f32_e64 v15, v15, -v24
	v_div_fixup_f32 v7, v27, v7, 1.0
	v_fmac_f32_e32 v28, v24, v14
	v_fmac_f32_e32 v15, v22, v14
	v_mul_f32_e32 v24, v28, v7
	v_mul_f32_e32 v22, v15, v7
.LBB35_20:                              ;   in Loop: Header=BB35_10 Depth=2
	s_or_b32 exec_lo, exec_lo, s1
	v_cmp_lt_i32_e64 s1, v11, v23
	s_mov_b32 s3, exec_lo
	v_cmpx_ge_i32_e64 v11, v23
	s_xor_b32 s3, exec_lo, s3
	s_cbranch_execnz .LBB35_33
; %bb.21:                               ;   in Loop: Header=BB35_10 Depth=2
	s_andn2_saveexec_b32 s3, s3
	s_cbranch_execnz .LBB35_49
.LBB35_22:                              ;   in Loop: Header=BB35_10 Depth=2
	s_or_b32 exec_lo, exec_lo, s3
	s_mov_b32 s3, exec_lo
	v_cmpx_eq_u32_e64 v1, v8
	s_cbranch_execz .LBB35_24
.LBB35_23:                              ;   in Loop: Header=BB35_10 Depth=2
	v_lshlrev_b64 v[14:15], 3, v[8:9]
	v_add_co_u32 v14, vcc_lo, s6, v14
	v_add_co_ci_u32_e64 v15, null, s7, v15, vcc_lo
	global_load_dwordx2 v[14:15], v[14:15], off
	s_waitcnt vmcnt(0)
	v_add_f32_e32 v25, v25, v14
	v_add_f32_e32 v26, v26, v15
.LBB35_24:                              ;   in Loop: Header=BB35_10 Depth=2
	s_or_b32 exec_lo, exec_lo, s3
	v_sub_f32_e32 v7, v12, v25
	v_sub_f32_e32 v13, v13, v26
                                        ; implicit-def: $vgpr14
	s_mov_b32 s3, exec_lo
	v_cmp_gt_f32_e32 vcc_lo, 0, v7
	v_cndmask_b32_e64 v7, v7, -v7, vcc_lo
	v_cmp_gt_f32_e32 vcc_lo, 0, v13
	v_cndmask_b32_e64 v12, v13, -v13, vcc_lo
	v_cmpx_ngt_f32_e32 v7, v12
	s_xor_b32 s44, exec_lo, s3
	s_cbranch_execz .LBB35_28
; %bb.25:                               ;   in Loop: Header=BB35_10 Depth=2
	v_mov_b32_e32 v14, 0
	s_mov_b32 s45, exec_lo
	v_cmpx_neq_f32_e32 0, v13
	s_cbranch_execz .LBB35_27
; %bb.26:                               ;   in Loop: Header=BB35_10 Depth=2
	v_div_scale_f32 v13, null, v12, v12, v7
	v_div_scale_f32 v25, vcc_lo, v7, v12, v7
	v_rcp_f32_e32 v14, v13
	v_fma_f32 v15, -v13, v14, 1.0
	v_fmac_f32_e32 v14, v15, v14
	v_mul_f32_e32 v15, v25, v14
	v_fma_f32 v26, -v13, v15, v25
	v_fmac_f32_e32 v15, v26, v14
	v_fma_f32 v13, -v13, v15, v25
	v_div_fmas_f32 v13, v13, v14, v15
	v_div_fixup_f32 v7, v13, v12, v7
	v_fma_f32 v7, v7, v7, 1.0
	v_mul_f32_e32 v13, 0x4f800000, v7
	v_cmp_gt_f32_e32 vcc_lo, 0xf800000, v7
	v_cndmask_b32_e32 v7, v7, v13, vcc_lo
	v_sqrt_f32_e32 v13, v7
	v_add_nc_u32_e32 v14, -1, v13
	v_add_nc_u32_e32 v15, 1, v13
	v_fma_f32 v25, -v14, v13, v7
	v_fma_f32 v26, -v15, v13, v7
	v_cmp_ge_f32_e64 s3, 0, v25
	v_cndmask_b32_e64 v13, v13, v14, s3
	v_cmp_lt_f32_e64 s3, 0, v26
	v_cndmask_b32_e64 v13, v13, v15, s3
	v_mul_f32_e32 v14, 0x37800000, v13
	v_cndmask_b32_e32 v13, v13, v14, vcc_lo
	v_cmp_class_f32_e64 vcc_lo, v7, 0x260
	v_cndmask_b32_e32 v7, v13, v7, vcc_lo
	v_mul_f32_e32 v14, v12, v7
.LBB35_27:                              ;   in Loop: Header=BB35_10 Depth=2
	s_or_b32 exec_lo, exec_lo, s45
                                        ; implicit-def: $vgpr7
                                        ; implicit-def: $vgpr12
.LBB35_28:                              ;   in Loop: Header=BB35_10 Depth=2
	s_andn2_saveexec_b32 s44, s44
	s_cbranch_execz .LBB35_30
; %bb.29:                               ;   in Loop: Header=BB35_10 Depth=2
	v_div_scale_f32 v13, null, v7, v7, v12
	v_div_scale_f32 v25, vcc_lo, v12, v7, v12
	v_rcp_f32_e32 v14, v13
	v_fma_f32 v15, -v13, v14, 1.0
	v_fmac_f32_e32 v14, v15, v14
	v_mul_f32_e32 v15, v25, v14
	v_fma_f32 v26, -v13, v15, v25
	v_fmac_f32_e32 v15, v26, v14
	v_fma_f32 v13, -v13, v15, v25
	v_div_fmas_f32 v13, v13, v14, v15
	v_div_fixup_f32 v12, v13, v7, v12
	v_fma_f32 v12, v12, v12, 1.0
	v_mul_f32_e32 v13, 0x4f800000, v12
	v_cmp_gt_f32_e32 vcc_lo, 0xf800000, v12
	v_cndmask_b32_e32 v12, v12, v13, vcc_lo
	v_sqrt_f32_e32 v13, v12
	v_add_nc_u32_e32 v14, -1, v13
	v_add_nc_u32_e32 v15, 1, v13
	v_fma_f32 v25, -v14, v13, v12
	v_fma_f32 v26, -v15, v13, v12
	v_cmp_ge_f32_e64 s3, 0, v25
	v_cndmask_b32_e64 v13, v13, v14, s3
	v_cmp_lt_f32_e64 s3, 0, v26
	v_cndmask_b32_e64 v13, v13, v15, s3
	v_mul_f32_e32 v14, 0x37800000, v13
	v_cndmask_b32_e32 v13, v13, v14, vcc_lo
	v_cmp_class_f32_e64 vcc_lo, v12, 0x260
	v_cndmask_b32_e32 v12, v13, v12, vcc_lo
	v_mul_f32_e32 v14, v7, v12
.LBB35_30:                              ;   in Loop: Header=BB35_10 Depth=2
	s_or_b32 exec_lo, exec_lo, s44
	v_cmp_gt_f32_e32 vcc_lo, 0, v24
                                        ; implicit-def: $vgpr13
	s_mov_b32 s3, exec_lo
	v_cndmask_b32_e64 v7, v24, -v24, vcc_lo
	v_cmp_gt_f32_e32 vcc_lo, 0, v22
	v_cndmask_b32_e64 v12, v22, -v22, vcc_lo
	v_cmpx_ngt_f32_e32 v7, v12
	s_xor_b32 s44, exec_lo, s3
	s_cbranch_execnz .LBB35_38
; %bb.31:                               ;   in Loop: Header=BB35_10 Depth=2
	s_andn2_saveexec_b32 s44, s44
	s_cbranch_execnz .LBB35_41
.LBB35_32:                              ;   in Loop: Header=BB35_10 Depth=2
	s_or_b32 exec_lo, exec_lo, s44
	v_cmp_class_f32_e64 s44, v13, 0x1f8
	s_and_saveexec_b32 s3, s44
	s_cbranch_execz .LBB35_9
	s_branch .LBB35_42
.LBB35_33:                              ;   in Loop: Header=BB35_10 Depth=2
	s_mov_b32 s44, exec_lo
	v_cmpx_lt_i32_e64 v2, v18
	s_cbranch_execz .LBB35_48
; %bb.34:                               ;   in Loop: Header=BB35_10 Depth=2
	v_mov_b32_e32 v7, v2
	s_mov_b32 s46, 0
                                        ; implicit-def: $sgpr45
                                        ; implicit-def: $sgpr48
                                        ; implicit-def: $sgpr47
	s_inst_prefetch 0x1
	s_branch .LBB35_36
	.p2align	6
.LBB35_35:                              ;   in Loop: Header=BB35_36 Depth=3
	s_or_b32 exec_lo, exec_lo, s49
	s_and_b32 s49, exec_lo, s48
	s_or_b32 s46, s49, s46
	s_andn2_b32 s45, s45, exec_lo
	s_and_b32 s49, s47, exec_lo
	s_or_b32 s45, s45, s49
	s_andn2_b32 exec_lo, exec_lo, s46
	s_cbranch_execz .LBB35_45
.LBB35_36:                              ;   Parent Loop BB35_6 Depth=1
                                        ;     Parent Loop BB35_10 Depth=2
                                        ; =>    This Inner Loop Header: Depth=3
	v_add_nc_u32_e32 v14, v4, v7
	s_or_b32 s47, s47, exec_lo
	s_or_b32 s48, s48, exec_lo
	s_mov_b32 s49, exec_lo
	v_ashrrev_i32_e32 v15, 31, v14
	v_lshlrev_b64 v[27:28], 2, v[14:15]
	v_add_co_u32 v27, vcc_lo, s20, v27
	v_add_co_ci_u32_e64 v28, null, s21, v28, vcc_lo
	global_load_dword v27, v[27:28], off
	s_waitcnt vmcnt(0)
	v_subrev_nc_u32_e32 v27, s38, v27
	v_cmpx_ne_u32_e64 v27, v8
	s_cbranch_execz .LBB35_35
; %bb.37:                               ;   in Loop: Header=BB35_36 Depth=3
	v_add_nc_u32_e32 v7, 1, v7
	s_andn2_b32 s48, s48, exec_lo
	s_andn2_b32 s47, s47, exec_lo
	v_cmp_ge_i32_e32 vcc_lo, v7, v18
	s_and_b32 s50, vcc_lo, exec_lo
	s_or_b32 s48, s48, s50
	s_branch .LBB35_35
.LBB35_38:                              ;   in Loop: Header=BB35_10 Depth=2
	v_mov_b32_e32 v13, 0
	s_mov_b32 s45, exec_lo
	v_cmpx_neq_f32_e32 0, v22
	s_cbranch_execz .LBB35_40
; %bb.39:                               ;   in Loop: Header=BB35_10 Depth=2
	v_div_scale_f32 v13, null, v12, v12, v7
	v_div_scale_f32 v26, vcc_lo, v7, v12, v7
	v_rcp_f32_e32 v15, v13
	v_fma_f32 v25, -v13, v15, 1.0
	v_fmac_f32_e32 v15, v25, v15
	v_mul_f32_e32 v25, v26, v15
	v_fma_f32 v27, -v13, v25, v26
	v_fmac_f32_e32 v25, v27, v15
	v_fma_f32 v13, -v13, v25, v26
	v_div_fmas_f32 v13, v13, v15, v25
	v_div_fixup_f32 v7, v13, v12, v7
	v_fma_f32 v7, v7, v7, 1.0
	v_mul_f32_e32 v13, 0x4f800000, v7
	v_cmp_gt_f32_e32 vcc_lo, 0xf800000, v7
	v_cndmask_b32_e32 v7, v7, v13, vcc_lo
	v_sqrt_f32_e32 v13, v7
	v_add_nc_u32_e32 v15, -1, v13
	v_add_nc_u32_e32 v25, 1, v13
	v_fma_f32 v26, -v15, v13, v7
	v_fma_f32 v27, -v25, v13, v7
	v_cmp_ge_f32_e64 s3, 0, v26
	v_cndmask_b32_e64 v13, v13, v15, s3
	v_cmp_lt_f32_e64 s3, 0, v27
	v_cndmask_b32_e64 v13, v13, v25, s3
	v_mul_f32_e32 v15, 0x37800000, v13
	v_cndmask_b32_e32 v13, v13, v15, vcc_lo
	v_cmp_class_f32_e64 vcc_lo, v7, 0x260
	v_cndmask_b32_e32 v7, v13, v7, vcc_lo
	v_mul_f32_e32 v13, v12, v7
.LBB35_40:                              ;   in Loop: Header=BB35_10 Depth=2
	s_or_b32 exec_lo, exec_lo, s45
                                        ; implicit-def: $vgpr7
                                        ; implicit-def: $vgpr12
	s_andn2_saveexec_b32 s44, s44
	s_cbranch_execz .LBB35_32
.LBB35_41:                              ;   in Loop: Header=BB35_10 Depth=2
	v_div_scale_f32 v13, null, v7, v7, v12
	v_div_scale_f32 v26, vcc_lo, v12, v7, v12
	v_rcp_f32_e32 v15, v13
	v_fma_f32 v25, -v13, v15, 1.0
	v_fmac_f32_e32 v15, v25, v15
	v_mul_f32_e32 v25, v26, v15
	v_fma_f32 v27, -v13, v25, v26
	v_fmac_f32_e32 v25, v27, v15
	v_fma_f32 v13, -v13, v25, v26
	v_div_fmas_f32 v13, v13, v15, v25
	v_div_fixup_f32 v12, v13, v7, v12
	v_fma_f32 v12, v12, v12, 1.0
	v_mul_f32_e32 v13, 0x4f800000, v12
	v_cmp_gt_f32_e32 vcc_lo, 0xf800000, v12
	v_cndmask_b32_e32 v12, v12, v13, vcc_lo
	v_sqrt_f32_e32 v13, v12
	v_add_nc_u32_e32 v15, -1, v13
	v_add_nc_u32_e32 v25, 1, v13
	v_fma_f32 v26, -v15, v13, v12
	v_fma_f32 v27, -v25, v13, v12
	v_cmp_ge_f32_e64 s3, 0, v26
	v_cndmask_b32_e64 v13, v13, v15, s3
	v_cmp_lt_f32_e64 s3, 0, v27
	v_cndmask_b32_e64 v13, v13, v25, s3
	v_mul_f32_e32 v15, 0x37800000, v13
	v_cndmask_b32_e32 v13, v13, v15, vcc_lo
	v_cmp_class_f32_e64 vcc_lo, v12, 0x260
	v_cndmask_b32_e32 v12, v13, v12, vcc_lo
	v_mul_f32_e32 v13, v7, v12
	s_or_b32 exec_lo, exec_lo, s44
	v_cmp_class_f32_e64 s44, v13, 0x1f8
	s_and_saveexec_b32 s3, s44
	s_cbranch_execz .LBB35_9
.LBB35_42:                              ;   in Loop: Header=BB35_10 Depth=2
	s_mov_b32 s44, 0
                                        ; implicit-def: $vgpr12_vgpr13
	s_and_saveexec_b32 s45, s2
	s_xor_b32 s2, exec_lo, s45
	s_cbranch_execnz .LBB35_56
; %bb.43:                               ;   in Loop: Header=BB35_10 Depth=2
	s_andn2_saveexec_b32 s1, s2
	s_cbranch_execnz .LBB35_69
.LBB35_44:                              ;   in Loop: Header=BB35_10 Depth=2
	s_or_b32 exec_lo, exec_lo, s1
	s_and_b32 exec_lo, exec_lo, s44
	s_cbranch_execz .LBB35_9
	s_branch .LBB35_78
.LBB35_45:                              ;   in Loop: Header=BB35_10 Depth=2
	s_inst_prefetch 0x2
	s_or_b32 exec_lo, exec_lo, s46
	s_and_saveexec_b32 s46, s45
	s_xor_b32 s45, exec_lo, s46
	s_cbranch_execz .LBB35_47
; %bb.46:                               ;   in Loop: Header=BB35_10 Depth=2
	v_lshlrev_b64 v[14:15], 3, v[14:15]
	v_lshlrev_b64 v[27:28], 3, v[8:9]
	v_add_co_u32 v14, vcc_lo, s22, v14
	v_add_co_ci_u32_e64 v15, null, s23, v15, vcc_lo
	v_add_co_u32 v27, vcc_lo, s6, v27
	v_add_co_ci_u32_e64 v28, null, s7, v28, vcc_lo
	global_load_dwordx2 v[14:15], v[14:15], off
	global_load_dwordx2 v[27:28], v[27:28], off
	s_waitcnt vmcnt(0)
	v_mul_f32_e64 v7, v28, -v15
	v_mul_f32_e32 v28, v28, v14
	v_fmac_f32_e32 v7, v14, v27
	v_fmac_f32_e32 v28, v15, v27
	v_add_f32_e32 v25, v25, v7
	v_add_f32_e32 v26, v26, v28
.LBB35_47:                              ;   in Loop: Header=BB35_10 Depth=2
	s_or_b32 exec_lo, exec_lo, s45
.LBB35_48:                              ;   in Loop: Header=BB35_10 Depth=2
	s_or_b32 exec_lo, exec_lo, s44
	s_andn2_saveexec_b32 s3, s3
	s_cbranch_execz .LBB35_22
.LBB35_49:                              ;   in Loop: Header=BB35_10 Depth=2
	v_mov_b32_e32 v7, v11
	s_mov_b32 s45, 0
                                        ; implicit-def: $sgpr44
                                        ; implicit-def: $sgpr47
                                        ; implicit-def: $sgpr46
	s_inst_prefetch 0x1
	s_branch .LBB35_51
	.p2align	6
.LBB35_50:                              ;   in Loop: Header=BB35_51 Depth=3
	s_or_b32 exec_lo, exec_lo, s48
	s_and_b32 s48, exec_lo, s47
	s_or_b32 s45, s48, s45
	s_andn2_b32 s44, s44, exec_lo
	s_and_b32 s48, s46, exec_lo
	s_or_b32 s44, s44, s48
	s_andn2_b32 exec_lo, exec_lo, s45
	s_cbranch_execz .LBB35_53
.LBB35_51:                              ;   Parent Loop BB35_6 Depth=1
                                        ;     Parent Loop BB35_10 Depth=2
                                        ; =>    This Inner Loop Header: Depth=3
	v_add_nc_u32_e32 v14, v10, v7
	s_or_b32 s46, s46, exec_lo
	s_or_b32 s47, s47, exec_lo
	s_mov_b32 s48, exec_lo
	v_ashrrev_i32_e32 v15, 31, v14
	v_lshlrev_b64 v[27:28], 2, v[14:15]
	v_add_co_u32 v27, vcc_lo, s12, v27
	v_add_co_ci_u32_e64 v28, null, s13, v28, vcc_lo
	global_load_dword v27, v[27:28], off
	s_waitcnt vmcnt(0)
	v_subrev_nc_u32_e32 v27, s39, v27
	v_cmpx_ne_u32_e64 v27, v1
	s_cbranch_execz .LBB35_50
; %bb.52:                               ;   in Loop: Header=BB35_51 Depth=3
	v_add_nc_u32_e32 v7, 1, v7
	s_andn2_b32 s47, s47, exec_lo
	s_andn2_b32 s46, s46, exec_lo
	v_cmp_ge_i32_e32 vcc_lo, v7, v23
	s_and_b32 s49, vcc_lo, exec_lo
	s_or_b32 s47, s47, s49
	s_branch .LBB35_50
.LBB35_53:                              ;   in Loop: Header=BB35_10 Depth=2
	s_inst_prefetch 0x2
	s_or_b32 exec_lo, exec_lo, s45
	s_and_saveexec_b32 s45, s44
	s_xor_b32 s44, exec_lo, s45
	s_cbranch_execz .LBB35_55
; %bb.54:                               ;   in Loop: Header=BB35_10 Depth=2
	v_lshlrev_b64 v[14:15], 3, v[14:15]
	v_add_co_u32 v14, vcc_lo, s14, v14
	v_add_co_ci_u32_e64 v15, null, s15, v15, vcc_lo
	global_load_dwordx2 v[14:15], v[14:15], off
	s_waitcnt vmcnt(0)
	v_add_f32_e32 v25, v25, v14
	v_add_f32_e32 v26, v26, v15
.LBB35_55:                              ;   in Loop: Header=BB35_10 Depth=2
	s_or_b32 exec_lo, exec_lo, s44
	s_or_b32 exec_lo, exec_lo, s3
	s_mov_b32 s3, exec_lo
	v_cmpx_eq_u32_e64 v1, v8
	s_cbranch_execnz .LBB35_23
	s_branch .LBB35_24
.LBB35_56:                              ;   in Loop: Header=BB35_10 Depth=2
	s_mov_b32 s45, exec_lo
                                        ; implicit-def: $vgpr12_vgpr13
	v_cmpx_ge_i32_e64 v1, v8
	s_xor_b32 s45, exec_lo, s45
	s_cbranch_execz .LBB35_58
; %bb.57:                               ;   in Loop: Header=BB35_10 Depth=2
	v_lshlrev_b64 v[7:8], 3, v[8:9]
	s_mov_b32 s44, exec_lo
                                        ; implicit-def: $vgpr11
                                        ; implicit-def: $vgpr10
                                        ; implicit-def: $vgpr23
	v_add_co_u32 v12, vcc_lo, s6, v7
	v_add_co_ci_u32_e64 v13, null, s7, v8, vcc_lo
	global_store_dword v[12:13], v24, off
                                        ; implicit-def: $vgpr24
.LBB35_58:                              ;   in Loop: Header=BB35_10 Depth=2
	s_andn2_saveexec_b32 s45, s45
	s_cbranch_execz .LBB35_68
; %bb.59:                               ;   in Loop: Header=BB35_10 Depth=2
	s_mov_b32 s47, s44
                                        ; implicit-def: $vgpr12_vgpr13
	s_and_saveexec_b32 s46, s1
	s_cbranch_execz .LBB35_67
; %bb.60:                               ;   in Loop: Header=BB35_10 Depth=2
	s_mov_b32 s47, 0
                                        ; implicit-def: $sgpr1
                                        ; implicit-def: $sgpr49
                                        ; implicit-def: $sgpr48
	s_inst_prefetch 0x1
	s_branch .LBB35_62
	.p2align	6
.LBB35_61:                              ;   in Loop: Header=BB35_62 Depth=3
	s_or_b32 exec_lo, exec_lo, s50
	s_and_b32 s50, exec_lo, s49
	s_or_b32 s47, s50, s47
	s_andn2_b32 s1, s1, exec_lo
	s_and_b32 s50, s48, exec_lo
	s_or_b32 s1, s1, s50
	s_andn2_b32 exec_lo, exec_lo, s47
	s_cbranch_execz .LBB35_64
.LBB35_62:                              ;   Parent Loop BB35_6 Depth=1
                                        ;     Parent Loop BB35_10 Depth=2
                                        ; =>    This Inner Loop Header: Depth=3
	v_add_nc_u32_e32 v7, v10, v11
	s_or_b32 s48, s48, exec_lo
	s_or_b32 s49, s49, exec_lo
	s_mov_b32 s50, exec_lo
	v_ashrrev_i32_e32 v8, 31, v7
	v_lshlrev_b64 v[12:13], 2, v[7:8]
	v_add_co_u32 v12, vcc_lo, s12, v12
	v_add_co_ci_u32_e64 v13, null, s13, v13, vcc_lo
	global_load_dword v2, v[12:13], off
	s_waitcnt vmcnt(0)
	v_subrev_nc_u32_e32 v2, s39, v2
	v_cmpx_ne_u32_e64 v2, v1
	s_cbranch_execz .LBB35_61
; %bb.63:                               ;   in Loop: Header=BB35_62 Depth=3
	v_add_nc_u32_e32 v11, 1, v11
	s_andn2_b32 s49, s49, exec_lo
	s_andn2_b32 s48, s48, exec_lo
	v_cmp_ge_i32_e32 vcc_lo, v11, v23
	s_and_b32 s51, vcc_lo, exec_lo
	s_or_b32 s49, s49, s51
	s_branch .LBB35_61
.LBB35_64:                              ;   in Loop: Header=BB35_10 Depth=2
	s_inst_prefetch 0x2
	s_or_b32 exec_lo, exec_lo, s47
	s_mov_b32 s47, s44
                                        ; implicit-def: $vgpr12_vgpr13
	s_and_saveexec_b32 s48, s1
	s_xor_b32 s1, exec_lo, s48
	s_cbranch_execz .LBB35_66
; %bb.65:                               ;   in Loop: Header=BB35_10 Depth=2
	v_lshlrev_b64 v[7:8], 3, v[7:8]
	s_or_b32 s47, s44, exec_lo
	v_add_co_u32 v12, vcc_lo, s14, v7
	v_add_co_ci_u32_e64 v13, null, s15, v8, vcc_lo
	global_store_dword v[12:13], v24, off
.LBB35_66:                              ;   in Loop: Header=BB35_10 Depth=2
	s_or_b32 exec_lo, exec_lo, s1
	s_andn2_b32 s1, s44, exec_lo
	s_and_b32 s47, s47, exec_lo
	s_or_b32 s47, s1, s47
.LBB35_67:                              ;   in Loop: Header=BB35_10 Depth=2
	s_or_b32 exec_lo, exec_lo, s46
	s_andn2_b32 s1, s44, exec_lo
	s_and_b32 s44, s47, exec_lo
	s_or_b32 s44, s1, s44
.LBB35_68:                              ;   in Loop: Header=BB35_10 Depth=2
	s_or_b32 exec_lo, exec_lo, s45
	s_and_b32 s44, s44, exec_lo
                                        ; implicit-def: $vgpr24
                                        ; implicit-def: $vgpr8_vgpr9
	s_andn2_saveexec_b32 s1, s2
	s_cbranch_execz .LBB35_44
.LBB35_69:                              ;   in Loop: Header=BB35_10 Depth=2
	s_mov_b32 s45, s44
	s_mov_b32 s2, exec_lo
                                        ; implicit-def: $vgpr12_vgpr13
	v_cmpx_lt_i32_e64 v2, v18
	s_cbranch_execz .LBB35_77
; %bb.70:                               ;   in Loop: Header=BB35_10 Depth=2
	s_mov_b32 s46, 0
                                        ; implicit-def: $sgpr45
                                        ; implicit-def: $sgpr48
                                        ; implicit-def: $sgpr47
	s_inst_prefetch 0x1
	s_branch .LBB35_72
	.p2align	6
.LBB35_71:                              ;   in Loop: Header=BB35_72 Depth=3
	s_or_b32 exec_lo, exec_lo, s49
	s_and_b32 s49, exec_lo, s48
	s_or_b32 s46, s49, s46
	s_andn2_b32 s45, s45, exec_lo
	s_and_b32 s49, s47, exec_lo
	s_or_b32 s45, s45, s49
	s_andn2_b32 exec_lo, exec_lo, s46
	s_cbranch_execz .LBB35_74
.LBB35_72:                              ;   Parent Loop BB35_6 Depth=1
                                        ;     Parent Loop BB35_10 Depth=2
                                        ; =>    This Inner Loop Header: Depth=3
	v_add_nc_u32_e32 v9, v4, v2
	s_or_b32 s47, s47, exec_lo
	s_or_b32 s48, s48, exec_lo
	s_mov_b32 s49, exec_lo
	v_ashrrev_i32_e32 v10, 31, v9
	v_lshlrev_b64 v[11:12], 2, v[9:10]
	v_add_co_u32 v11, vcc_lo, s20, v11
	v_add_co_ci_u32_e64 v12, null, s21, v12, vcc_lo
	global_load_dword v7, v[11:12], off
	s_waitcnt vmcnt(0)
	v_subrev_nc_u32_e32 v7, s38, v7
	v_cmpx_ne_u32_e64 v7, v8
	s_cbranch_execz .LBB35_71
; %bb.73:                               ;   in Loop: Header=BB35_72 Depth=3
	v_add_nc_u32_e32 v2, 1, v2
	s_andn2_b32 s48, s48, exec_lo
	s_andn2_b32 s47, s47, exec_lo
	v_cmp_ge_i32_e32 vcc_lo, v2, v18
	s_and_b32 s50, vcc_lo, exec_lo
	s_or_b32 s48, s48, s50
	s_branch .LBB35_71
.LBB35_74:                              ;   in Loop: Header=BB35_10 Depth=2
	s_inst_prefetch 0x2
	s_or_b32 exec_lo, exec_lo, s46
	s_mov_b32 s46, s44
                                        ; implicit-def: $vgpr12_vgpr13
	s_and_saveexec_b32 s47, s45
	s_xor_b32 s45, exec_lo, s47
	s_cbranch_execz .LBB35_76
; %bb.75:                               ;   in Loop: Header=BB35_10 Depth=2
	v_lshlrev_b64 v[7:8], 3, v[9:10]
	s_or_b32 s46, s44, exec_lo
	v_add_co_u32 v12, vcc_lo, s22, v7
	v_add_co_ci_u32_e64 v13, null, s23, v8, vcc_lo
	global_store_dword v[12:13], v24, off
.LBB35_76:                              ;   in Loop: Header=BB35_10 Depth=2
	s_or_b32 exec_lo, exec_lo, s45
	s_andn2_b32 s45, s44, exec_lo
	s_and_b32 s46, s46, exec_lo
	s_or_b32 s45, s45, s46
.LBB35_77:                              ;   in Loop: Header=BB35_10 Depth=2
	s_or_b32 exec_lo, exec_lo, s2
	s_andn2_b32 s2, s44, exec_lo
	s_and_b32 s44, s45, exec_lo
	s_or_b32 s44, s2, s44
	s_or_b32 exec_lo, exec_lo, s1
	s_and_b32 exec_lo, exec_lo, s44
	s_cbranch_execz .LBB35_9
.LBB35_78:                              ;   in Loop: Header=BB35_10 Depth=2
	global_store_dword v[12:13], v22, off offset:4
	s_branch .LBB35_9
.LBB35_79:
	s_or_b32 exec_lo, exec_lo, s40
.LBB35_80:
	s_or_b32 exec_lo, exec_lo, s35
.LBB35_81:
	s_or_b32 exec_lo, exec_lo, s33
	v_lshlrev_b32_e32 v1, 2, v0
	s_mov_b32 s0, exec_lo
	ds_write_b32 v1, v16
	s_waitcnt lgkmcnt(0)
	s_waitcnt_vscnt null, 0x0
	s_barrier
	buffer_gl0_inv
	v_cmpx_gt_u32_e32 0x200, v0
	s_cbranch_execz .LBB35_83
; %bb.82:
	ds_read2st64_b32 v[2:3], v1 offset1:8
	s_waitcnt lgkmcnt(0)
	v_cmp_lt_f32_e32 vcc_lo, v2, v3
	v_cndmask_b32_e32 v2, v2, v3, vcc_lo
	ds_write_b32 v1, v2
.LBB35_83:
	s_or_b32 exec_lo, exec_lo, s0
	s_mov_b32 s0, exec_lo
	s_waitcnt lgkmcnt(0)
	s_barrier
	buffer_gl0_inv
	v_cmpx_gt_u32_e32 0x100, v0
	s_cbranch_execz .LBB35_85
; %bb.84:
	ds_read2st64_b32 v[2:3], v1 offset1:4
	s_waitcnt lgkmcnt(0)
	v_cmp_lt_f32_e32 vcc_lo, v2, v3
	v_cndmask_b32_e32 v2, v2, v3, vcc_lo
	ds_write_b32 v1, v2
.LBB35_85:
	s_or_b32 exec_lo, exec_lo, s0
	s_mov_b32 s0, exec_lo
	s_waitcnt lgkmcnt(0)
	;; [unrolled: 14-line block ×4, first 2 shown]
	s_barrier
	buffer_gl0_inv
	v_cmpx_gt_u32_e32 32, v0
	s_cbranch_execz .LBB35_91
; %bb.90:
	ds_read2_b32 v[2:3], v1 offset1:32
	s_waitcnt lgkmcnt(0)
	v_cmp_lt_f32_e32 vcc_lo, v2, v3
	v_cndmask_b32_e32 v2, v2, v3, vcc_lo
	ds_write_b32 v1, v2
.LBB35_91:
	s_or_b32 exec_lo, exec_lo, s0
	s_mov_b32 s0, exec_lo
	s_waitcnt lgkmcnt(0)
	s_barrier
	buffer_gl0_inv
	v_cmpx_gt_u32_e32 16, v0
	s_cbranch_execz .LBB35_93
; %bb.92:
	ds_read2_b32 v[2:3], v1 offset1:16
	s_waitcnt lgkmcnt(0)
	v_cmp_lt_f32_e32 vcc_lo, v2, v3
	v_cndmask_b32_e32 v2, v2, v3, vcc_lo
	ds_write_b32 v1, v2
.LBB35_93:
	s_or_b32 exec_lo, exec_lo, s0
	s_mov_b32 s0, exec_lo
	s_waitcnt lgkmcnt(0)
	;; [unrolled: 14-line block ×4, first 2 shown]
	s_barrier
	buffer_gl0_inv
	v_cmpx_gt_u32_e32 2, v0
	s_cbranch_execz .LBB35_99
; %bb.98:
	ds_read2_b32 v[2:3], v1 offset1:2
	s_waitcnt lgkmcnt(0)
	v_cmp_lt_f32_e32 vcc_lo, v2, v3
	v_cndmask_b32_e32 v2, v2, v3, vcc_lo
	ds_write_b32 v1, v2
.LBB35_99:
	s_or_b32 exec_lo, exec_lo, s0
	v_cmp_eq_u32_e32 vcc_lo, 0, v0
	s_waitcnt lgkmcnt(0)
	s_barrier
	buffer_gl0_inv
	s_and_saveexec_b32 s1, vcc_lo
	s_cbranch_execz .LBB35_101
; %bb.100:
	v_mov_b32_e32 v2, 0
	ds_read_b64 v[0:1], v2
	s_waitcnt lgkmcnt(0)
	v_cmp_lt_f32_e64 s0, v0, v1
	v_cndmask_b32_e64 v0, v0, v1, s0
	ds_write_b32 v2, v0
.LBB35_101:
	s_or_b32 exec_lo, exec_lo, s1
	s_waitcnt lgkmcnt(0)
	s_barrier
	buffer_gl0_inv
	s_and_saveexec_b32 s0, vcc_lo
	s_cbranch_execz .LBB35_105
; %bb.102:
	v_mbcnt_lo_u32_b32 v0, exec_lo, 0
	s_mov_b32 s6, 0
	v_cmp_eq_u32_e32 vcc_lo, 0, v0
	s_and_b32 exec_lo, exec_lo, vcc_lo
	s_cbranch_execz .LBB35_105
; %bb.103:
	s_load_dwordx4 s[0:3], s[4:5], 0x88
	v_mov_b32_e32 v2, 0
	s_waitcnt lgkmcnt(0)
	s_clause 0x1
	global_load_dword v0, v2, s[2:3]
	global_load_dword v1, v2, s[0:1]
	ds_read_b32 v3, v2
	s_waitcnt vmcnt(1) lgkmcnt(0)
	v_div_scale_f32 v4, null, v0, v0, v3
	v_rcp_f32_e32 v5, v4
	v_fma_f32 v6, -v4, v5, 1.0
	v_fmac_f32_e32 v5, v6, v5
	v_div_scale_f32 v6, vcc_lo, v3, v0, v3
	v_mul_f32_e32 v7, v6, v5
	v_fma_f32 v8, -v4, v7, v6
	v_fmac_f32_e32 v7, v8, v5
	v_fma_f32 v4, -v4, v7, v6
	v_div_fmas_f32 v4, v4, v5, v7
	v_div_fixup_f32 v0, v4, v0, v3
	v_max_f32_e32 v3, v0, v0
.LBB35_104:                             ; =>This Inner Loop Header: Depth=1
	s_waitcnt vmcnt(0)
	v_max_f32_e32 v0, v1, v1
	v_max_f32_e32 v0, v0, v3
	global_atomic_cmpswap v0, v2, v[0:1], s[0:1] glc
	s_waitcnt vmcnt(0)
	v_cmp_eq_u32_e32 vcc_lo, v0, v1
	v_mov_b32_e32 v1, v0
	s_or_b32 s6, vcc_lo, s6
	s_andn2_b32 exec_lo, exec_lo, s6
	s_cbranch_execnz .LBB35_104
.LBB35_105:
	s_endpgm
	.section	.rodata,"a",@progbits
	.p2align	6, 0x0
	.amdhsa_kernel _ZN9rocsparseL17kernel_correctionILi1024ELi1E21rocsparse_complex_numIfEiiEEvT3_T2_PKS4_S6_PKS3_PKT1_21rocsparse_index_base_S6_S6_S8_PS9_SC_S6_S6_S8_SD_SC_SD_PNS_15floating_traitsIS9_E6data_tEPKSG_
		.amdhsa_group_segment_fixed_size 4096
		.amdhsa_private_segment_fixed_size 0
		.amdhsa_kernarg_size 152
		.amdhsa_user_sgpr_count 6
		.amdhsa_user_sgpr_private_segment_buffer 1
		.amdhsa_user_sgpr_dispatch_ptr 0
		.amdhsa_user_sgpr_queue_ptr 0
		.amdhsa_user_sgpr_kernarg_segment_ptr 1
		.amdhsa_user_sgpr_dispatch_id 0
		.amdhsa_user_sgpr_flat_scratch_init 0
		.amdhsa_user_sgpr_private_segment_size 0
		.amdhsa_wavefront_size32 1
		.amdhsa_uses_dynamic_stack 0
		.amdhsa_system_sgpr_private_segment_wavefront_offset 0
		.amdhsa_system_sgpr_workgroup_id_x 1
		.amdhsa_system_sgpr_workgroup_id_y 0
		.amdhsa_system_sgpr_workgroup_id_z 0
		.amdhsa_system_sgpr_workgroup_info 0
		.amdhsa_system_vgpr_workitem_id 0
		.amdhsa_next_free_vgpr 32
		.amdhsa_next_free_sgpr 52
		.amdhsa_reserve_vcc 1
		.amdhsa_reserve_flat_scratch 0
		.amdhsa_float_round_mode_32 0
		.amdhsa_float_round_mode_16_64 0
		.amdhsa_float_denorm_mode_32 3
		.amdhsa_float_denorm_mode_16_64 3
		.amdhsa_dx10_clamp 1
		.amdhsa_ieee_mode 1
		.amdhsa_fp16_overflow 0
		.amdhsa_workgroup_processor_mode 1
		.amdhsa_memory_ordered 1
		.amdhsa_forward_progress 1
		.amdhsa_shared_vgpr_count 0
		.amdhsa_exception_fp_ieee_invalid_op 0
		.amdhsa_exception_fp_denorm_src 0
		.amdhsa_exception_fp_ieee_div_zero 0
		.amdhsa_exception_fp_ieee_overflow 0
		.amdhsa_exception_fp_ieee_underflow 0
		.amdhsa_exception_fp_ieee_inexact 0
		.amdhsa_exception_int_div_zero 0
	.end_amdhsa_kernel
	.section	.text._ZN9rocsparseL17kernel_correctionILi1024ELi1E21rocsparse_complex_numIfEiiEEvT3_T2_PKS4_S6_PKS3_PKT1_21rocsparse_index_base_S6_S6_S8_PS9_SC_S6_S6_S8_SD_SC_SD_PNS_15floating_traitsIS9_E6data_tEPKSG_,"axG",@progbits,_ZN9rocsparseL17kernel_correctionILi1024ELi1E21rocsparse_complex_numIfEiiEEvT3_T2_PKS4_S6_PKS3_PKT1_21rocsparse_index_base_S6_S6_S8_PS9_SC_S6_S6_S8_SD_SC_SD_PNS_15floating_traitsIS9_E6data_tEPKSG_,comdat
.Lfunc_end35:
	.size	_ZN9rocsparseL17kernel_correctionILi1024ELi1E21rocsparse_complex_numIfEiiEEvT3_T2_PKS4_S6_PKS3_PKT1_21rocsparse_index_base_S6_S6_S8_PS9_SC_S6_S6_S8_SD_SC_SD_PNS_15floating_traitsIS9_E6data_tEPKSG_, .Lfunc_end35-_ZN9rocsparseL17kernel_correctionILi1024ELi1E21rocsparse_complex_numIfEiiEEvT3_T2_PKS4_S6_PKS3_PKT1_21rocsparse_index_base_S6_S6_S8_PS9_SC_S6_S6_S8_SD_SC_SD_PNS_15floating_traitsIS9_E6data_tEPKSG_
                                        ; -- End function
	.set _ZN9rocsparseL17kernel_correctionILi1024ELi1E21rocsparse_complex_numIfEiiEEvT3_T2_PKS4_S6_PKS3_PKT1_21rocsparse_index_base_S6_S6_S8_PS9_SC_S6_S6_S8_SD_SC_SD_PNS_15floating_traitsIS9_E6data_tEPKSG_.num_vgpr, 32
	.set _ZN9rocsparseL17kernel_correctionILi1024ELi1E21rocsparse_complex_numIfEiiEEvT3_T2_PKS4_S6_PKS3_PKT1_21rocsparse_index_base_S6_S6_S8_PS9_SC_S6_S6_S8_SD_SC_SD_PNS_15floating_traitsIS9_E6data_tEPKSG_.num_agpr, 0
	.set _ZN9rocsparseL17kernel_correctionILi1024ELi1E21rocsparse_complex_numIfEiiEEvT3_T2_PKS4_S6_PKS3_PKT1_21rocsparse_index_base_S6_S6_S8_PS9_SC_S6_S6_S8_SD_SC_SD_PNS_15floating_traitsIS9_E6data_tEPKSG_.numbered_sgpr, 52
	.set _ZN9rocsparseL17kernel_correctionILi1024ELi1E21rocsparse_complex_numIfEiiEEvT3_T2_PKS4_S6_PKS3_PKT1_21rocsparse_index_base_S6_S6_S8_PS9_SC_S6_S6_S8_SD_SC_SD_PNS_15floating_traitsIS9_E6data_tEPKSG_.num_named_barrier, 0
	.set _ZN9rocsparseL17kernel_correctionILi1024ELi1E21rocsparse_complex_numIfEiiEEvT3_T2_PKS4_S6_PKS3_PKT1_21rocsparse_index_base_S6_S6_S8_PS9_SC_S6_S6_S8_SD_SC_SD_PNS_15floating_traitsIS9_E6data_tEPKSG_.private_seg_size, 0
	.set _ZN9rocsparseL17kernel_correctionILi1024ELi1E21rocsparse_complex_numIfEiiEEvT3_T2_PKS4_S6_PKS3_PKT1_21rocsparse_index_base_S6_S6_S8_PS9_SC_S6_S6_S8_SD_SC_SD_PNS_15floating_traitsIS9_E6data_tEPKSG_.uses_vcc, 1
	.set _ZN9rocsparseL17kernel_correctionILi1024ELi1E21rocsparse_complex_numIfEiiEEvT3_T2_PKS4_S6_PKS3_PKT1_21rocsparse_index_base_S6_S6_S8_PS9_SC_S6_S6_S8_SD_SC_SD_PNS_15floating_traitsIS9_E6data_tEPKSG_.uses_flat_scratch, 0
	.set _ZN9rocsparseL17kernel_correctionILi1024ELi1E21rocsparse_complex_numIfEiiEEvT3_T2_PKS4_S6_PKS3_PKT1_21rocsparse_index_base_S6_S6_S8_PS9_SC_S6_S6_S8_SD_SC_SD_PNS_15floating_traitsIS9_E6data_tEPKSG_.has_dyn_sized_stack, 0
	.set _ZN9rocsparseL17kernel_correctionILi1024ELi1E21rocsparse_complex_numIfEiiEEvT3_T2_PKS4_S6_PKS3_PKT1_21rocsparse_index_base_S6_S6_S8_PS9_SC_S6_S6_S8_SD_SC_SD_PNS_15floating_traitsIS9_E6data_tEPKSG_.has_recursion, 0
	.set _ZN9rocsparseL17kernel_correctionILi1024ELi1E21rocsparse_complex_numIfEiiEEvT3_T2_PKS4_S6_PKS3_PKT1_21rocsparse_index_base_S6_S6_S8_PS9_SC_S6_S6_S8_SD_SC_SD_PNS_15floating_traitsIS9_E6data_tEPKSG_.has_indirect_call, 0
	.section	.AMDGPU.csdata,"",@progbits
; Kernel info:
; codeLenInByte = 4448
; TotalNumSgprs: 54
; NumVgprs: 32
; ScratchSize: 0
; MemoryBound: 0
; FloatMode: 240
; IeeeMode: 1
; LDSByteSize: 4096 bytes/workgroup (compile time only)
; SGPRBlocks: 0
; VGPRBlocks: 3
; NumSGPRsForWavesPerEU: 54
; NumVGPRsForWavesPerEU: 32
; Occupancy: 16
; WaveLimiterHint : 1
; COMPUTE_PGM_RSRC2:SCRATCH_EN: 0
; COMPUTE_PGM_RSRC2:USER_SGPR: 6
; COMPUTE_PGM_RSRC2:TRAP_HANDLER: 0
; COMPUTE_PGM_RSRC2:TGID_X_EN: 1
; COMPUTE_PGM_RSRC2:TGID_Y_EN: 0
; COMPUTE_PGM_RSRC2:TGID_Z_EN: 0
; COMPUTE_PGM_RSRC2:TIDIG_COMP_CNT: 0
	.section	.text._ZN9rocsparseL17kernel_correctionILi1024ELi2E21rocsparse_complex_numIfEiiEEvT3_T2_PKS4_S6_PKS3_PKT1_21rocsparse_index_base_S6_S6_S8_PS9_SC_S6_S6_S8_SD_SC_SD_PNS_15floating_traitsIS9_E6data_tEPKSG_,"axG",@progbits,_ZN9rocsparseL17kernel_correctionILi1024ELi2E21rocsparse_complex_numIfEiiEEvT3_T2_PKS4_S6_PKS3_PKT1_21rocsparse_index_base_S6_S6_S8_PS9_SC_S6_S6_S8_SD_SC_SD_PNS_15floating_traitsIS9_E6data_tEPKSG_,comdat
	.globl	_ZN9rocsparseL17kernel_correctionILi1024ELi2E21rocsparse_complex_numIfEiiEEvT3_T2_PKS4_S6_PKS3_PKT1_21rocsparse_index_base_S6_S6_S8_PS9_SC_S6_S6_S8_SD_SC_SD_PNS_15floating_traitsIS9_E6data_tEPKSG_ ; -- Begin function _ZN9rocsparseL17kernel_correctionILi1024ELi2E21rocsparse_complex_numIfEiiEEvT3_T2_PKS4_S6_PKS3_PKT1_21rocsparse_index_base_S6_S6_S8_PS9_SC_S6_S6_S8_SD_SC_SD_PNS_15floating_traitsIS9_E6data_tEPKSG_
	.p2align	8
	.type	_ZN9rocsparseL17kernel_correctionILi1024ELi2E21rocsparse_complex_numIfEiiEEvT3_T2_PKS4_S6_PKS3_PKT1_21rocsparse_index_base_S6_S6_S8_PS9_SC_S6_S6_S8_SD_SC_SD_PNS_15floating_traitsIS9_E6data_tEPKSG_,@function
_ZN9rocsparseL17kernel_correctionILi1024ELi2E21rocsparse_complex_numIfEiiEEvT3_T2_PKS4_S6_PKS3_PKT1_21rocsparse_index_base_S6_S6_S8_PS9_SC_S6_S6_S8_SD_SC_SD_PNS_15floating_traitsIS9_E6data_tEPKSG_: ; @_ZN9rocsparseL17kernel_correctionILi1024ELi2E21rocsparse_complex_numIfEiiEEvT3_T2_PKS4_S6_PKS3_PKT1_21rocsparse_index_base_S6_S6_S8_PS9_SC_S6_S6_S8_SD_SC_SD_PNS_15floating_traitsIS9_E6data_tEPKSG_
; %bb.0:
	s_load_dword s34, s[4:5], 0x0
	v_lshrrev_b32_e32 v15, 1, v0
	s_lshl_b32 s36, s6, 10
	v_and_b32_e32 v16, 1, v0
	v_mov_b32_e32 v17, 0
	s_mov_b32 s33, exec_lo
	v_or_b32_e32 v1, s36, v15
	s_waitcnt lgkmcnt(0)
	v_cmpx_gt_i32_e64 s34, v1
	s_cbranch_execz .LBB36_81
; %bb.1:
	v_mov_b32_e32 v17, 0
	s_addk_i32 s36, 0x400
	s_mov_b32 s35, exec_lo
	v_cmpx_gt_u32_e64 s36, v1
	s_cbranch_execz .LBB36_80
; %bb.2:
	s_clause 0x6
	s_load_dword s37, s[4:5], 0x28
	s_load_dwordx8 s[8:15], s[4:5], 0x58
	s_load_dwordx8 s[16:23], s[4:5], 0x30
	;; [unrolled: 1-line block ×3, first 2 shown]
	s_load_dword s38, s[4:5], 0x50
	s_load_dwordx2 s[6:7], s[4:5], 0x80
	s_load_dword s39, s[4:5], 0x78
	v_mov_b32_e32 v3, 0
	v_mov_b32_e32 v17, 0
	s_mov_b32 s40, 0
	s_waitcnt lgkmcnt(0)
	v_subrev_nc_u32_e32 v18, s37, v16
	s_branch .LBB36_6
.LBB36_3:                               ;   in Loop: Header=BB36_6 Depth=1
	s_or_b32 exec_lo, exec_lo, s43
.LBB36_4:                               ;   in Loop: Header=BB36_6 Depth=1
	s_or_b32 exec_lo, exec_lo, s42
.LBB36_5:                               ;   in Loop: Header=BB36_6 Depth=1
	s_or_b32 exec_lo, exec_lo, s41
	v_add_nc_u32_e32 v1, 0x200, v1
	v_cmp_le_u32_e32 vcc_lo, s36, v1
	s_or_b32 s40, vcc_lo, s40
	s_andn2_b32 exec_lo, exec_lo, s40
	s_cbranch_execz .LBB36_79
.LBB36_6:                               ; =>This Loop Header: Depth=1
                                        ;     Child Loop BB36_10 Depth 2
                                        ;       Child Loop BB36_14 Depth 3
                                        ;       Child Loop BB36_36 Depth 3
	;; [unrolled: 1-line block ×5, first 2 shown]
	s_mov_b32 s41, exec_lo
	v_cmpx_gt_i32_e64 s34, v1
	s_cbranch_execz .LBB36_5
; %bb.7:                                ;   in Loop: Header=BB36_6 Depth=1
	v_ashrrev_i32_e32 v2, 31, v1
	s_mov_b32 s42, exec_lo
	v_lshlrev_b64 v[5:6], 2, v[1:2]
	v_add_co_u32 v7, vcc_lo, s24, v5
	v_add_co_ci_u32_e64 v8, null, s25, v6, vcc_lo
	v_add_co_u32 v9, vcc_lo, s26, v5
	v_add_co_ci_u32_e64 v10, null, s27, v6, vcc_lo
	global_load_dword v2, v[7:8], off
	global_load_dword v7, v[9:10], off
	s_waitcnt vmcnt(1)
	v_add_nc_u32_e32 v4, v18, v2
	s_waitcnt vmcnt(0)
	v_subrev_nc_u32_e32 v19, s37, v7
	v_cmpx_lt_i32_e64 v4, v19
	s_cbranch_execz .LBB36_4
; %bb.8:                                ;   in Loop: Header=BB36_6 Depth=1
	v_add_co_u32 v7, vcc_lo, s16, v5
	v_add_co_ci_u32_e64 v8, null, s17, v6, vcc_lo
	v_add_co_u32 v5, vcc_lo, s18, v5
	v_add_co_ci_u32_e64 v6, null, s19, v6, vcc_lo
	global_load_dword v2, v[7:8], off
	s_mov_b32 s43, 0
	global_load_dword v5, v[5:6], off
	s_waitcnt vmcnt(1)
	v_subrev_nc_u32_e32 v6, s38, v2
	s_waitcnt vmcnt(0)
	v_sub_nc_u32_e32 v20, v5, v2
	v_ashrrev_i32_e32 v7, 31, v6
	v_cmp_lt_i32_e64 s0, 0, v20
	v_lshlrev_b64 v[8:9], 2, v[6:7]
	v_lshlrev_b64 v[10:11], 3, v[6:7]
	v_add_co_u32 v21, vcc_lo, s20, v8
	v_add_co_ci_u32_e64 v22, null, s21, v9, vcc_lo
	v_add_co_u32 v23, vcc_lo, s22, v10
	v_add_co_ci_u32_e64 v24, null, s23, v11, vcc_lo
	s_branch .LBB36_10
.LBB36_9:                               ;   in Loop: Header=BB36_10 Depth=2
	s_or_b32 exec_lo, exec_lo, s3
	v_add_nc_u32_e32 v4, 2, v4
	v_cmp_nlg_f32_e64 s2, 0x7f800000, |v13|
	v_cmp_gt_f32_e32 vcc_lo, v17, v13
	v_cmp_ge_i32_e64 s1, v4, v19
	s_or_b32 vcc_lo, s2, vcc_lo
	v_cndmask_b32_e32 v17, v13, v17, vcc_lo
	s_or_b32 s43, s1, s43
	s_andn2_b32 exec_lo, exec_lo, s43
	s_cbranch_execz .LBB36_3
.LBB36_10:                              ;   Parent Loop BB36_6 Depth=1
                                        ; =>  This Loop Header: Depth=2
                                        ;       Child Loop BB36_14 Depth 3
                                        ;       Child Loop BB36_36 Depth 3
	;; [unrolled: 1-line block ×5, first 2 shown]
	v_ashrrev_i32_e32 v5, 31, v4
	v_mov_b32_e32 v27, 0
	v_mov_b32_e32 v28, 0
	v_lshlrev_b64 v[7:8], 2, v[4:5]
	v_add_co_u32 v7, vcc_lo, s28, v7
	v_add_co_ci_u32_e64 v8, null, s29, v8, vcc_lo
	global_load_dword v2, v[7:8], off
	s_waitcnt vmcnt(0)
	v_subrev_nc_u32_e32 v7, s37, v2
	v_mov_b32_e32 v2, 0
	v_ashrrev_i32_e32 v8, 31, v7
	v_lshlrev_b64 v[9:10], 2, v[7:8]
	v_add_co_u32 v11, vcc_lo, s8, v9
	v_add_co_ci_u32_e64 v12, null, s9, v10, vcc_lo
	v_add_co_u32 v9, vcc_lo, s10, v9
	v_add_co_ci_u32_e64 v10, null, s11, v10, vcc_lo
	global_load_dword v11, v[11:12], off
	global_load_dword v10, v[9:10], off
	s_waitcnt vmcnt(1)
	v_subrev_nc_u32_e32 v9, s39, v11
	s_waitcnt vmcnt(0)
	v_sub_nc_u32_e32 v25, v10, v11
	v_mov_b32_e32 v10, v2
	s_and_saveexec_b32 s2, s0
	s_cbranch_execz .LBB36_18
; %bb.11:                               ;   in Loop: Header=BB36_10 Depth=2
	v_ashrrev_i32_e32 v10, 31, v9
	v_mov_b32_e32 v27, 0
	v_mov_b32_e32 v2, 0
	;; [unrolled: 1-line block ×3, first 2 shown]
	s_mov_b32 s3, 0
	v_lshlrev_b64 v[12:13], 2, v[9:10]
	v_lshlrev_b64 v[10:11], 3, v[9:10]
                                        ; implicit-def: $sgpr44
	v_add_co_u32 v12, vcc_lo, s12, v12
	v_add_co_ci_u32_e64 v13, null, s13, v13, vcc_lo
	v_add_co_u32 v14, vcc_lo, s14, v10
	v_add_co_ci_u32_e64 v26, null, s15, v11, vcc_lo
	v_mov_b32_e32 v10, 0
	s_branch .LBB36_14
.LBB36_12:                              ;   in Loop: Header=BB36_14 Depth=3
	s_or_b32 exec_lo, exec_lo, s1
	v_cmp_le_i32_e32 vcc_lo, v29, v30
	v_cmp_ge_i32_e64 s1, v29, v30
	v_add_co_ci_u32_e64 v2, null, 0, v2, vcc_lo
	v_add_co_ci_u32_e64 v10, null, 0, v10, s1
	s_andn2_b32 s1, s44, exec_lo
	v_cmp_ge_i32_e32 vcc_lo, v2, v20
	s_and_b32 s44, vcc_lo, exec_lo
	s_or_b32 s44, s1, s44
.LBB36_13:                              ;   in Loop: Header=BB36_14 Depth=3
	s_or_b32 exec_lo, exec_lo, s45
	s_and_b32 s1, exec_lo, s44
	s_or_b32 s3, s1, s3
	s_andn2_b32 exec_lo, exec_lo, s3
	s_cbranch_execz .LBB36_17
.LBB36_14:                              ;   Parent Loop BB36_6 Depth=1
                                        ;     Parent Loop BB36_10 Depth=2
                                        ; =>    This Inner Loop Header: Depth=3
	s_or_b32 s44, s44, exec_lo
	s_mov_b32 s45, exec_lo
	v_cmpx_lt_i32_e64 v10, v25
	s_cbranch_execz .LBB36_13
; %bb.15:                               ;   in Loop: Header=BB36_14 Depth=3
	v_mov_b32_e32 v11, v3
	v_lshlrev_b64 v[29:30], 2, v[2:3]
	s_mov_b32 s1, exec_lo
	v_lshlrev_b64 v[31:32], 2, v[10:11]
	v_add_co_u32 v29, vcc_lo, v21, v29
	v_add_co_ci_u32_e64 v30, null, v22, v30, vcc_lo
	v_add_co_u32 v31, vcc_lo, v12, v31
	v_add_co_ci_u32_e64 v32, null, v13, v32, vcc_lo
	global_load_dword v29, v[29:30], off
	global_load_dword v30, v[31:32], off
	s_waitcnt vmcnt(1)
	v_subrev_nc_u32_e32 v29, s38, v29
	s_waitcnt vmcnt(0)
	v_subrev_nc_u32_e32 v30, s39, v30
	v_cmpx_eq_u32_e64 v29, v30
	s_cbranch_execz .LBB36_12
; %bb.16:                               ;   in Loop: Header=BB36_14 Depth=3
	v_lshlrev_b64 v[31:32], 3, v[2:3]
	v_lshlrev_b64 v[33:34], 3, v[10:11]
	v_add_co_u32 v31, vcc_lo, v23, v31
	v_add_co_ci_u32_e64 v32, null, v24, v32, vcc_lo
	v_add_co_u32 v33, vcc_lo, v14, v33
	v_add_co_ci_u32_e64 v34, null, v26, v34, vcc_lo
	global_load_dwordx2 v[31:32], v[31:32], off
	global_load_dwordx2 v[33:34], v[33:34], off
	s_waitcnt vmcnt(0)
	v_fmac_f32_e32 v27, v31, v33
	v_fmac_f32_e32 v28, v32, v33
	v_fma_f32 v27, -v32, v34, v27
	v_fmac_f32_e32 v28, v31, v34
	s_branch .LBB36_12
.LBB36_17:                              ;   in Loop: Header=BB36_10 Depth=2
	s_or_b32 exec_lo, exec_lo, s3
.LBB36_18:                              ;   in Loop: Header=BB36_10 Depth=2
	s_or_b32 exec_lo, exec_lo, s2
	v_lshlrev_b64 v[11:12], 3, v[4:5]
	v_cmp_le_i32_e64 s2, v1, v7
	s_mov_b32 s1, exec_lo
	v_add_co_u32 v11, vcc_lo, s30, v11
	v_add_co_ci_u32_e64 v12, null, s31, v12, vcc_lo
	global_load_dwordx2 v[11:12], v[11:12], off
	s_waitcnt vmcnt(0)
	v_sub_f32_e32 v26, v11, v27
	v_sub_f32_e32 v5, v12, v28
	v_cmpx_gt_i32_e64 v1, v7
	s_cbranch_execz .LBB36_20
; %bb.19:                               ;   in Loop: Header=BB36_10 Depth=2
	v_lshlrev_b64 v[13:14], 3, v[7:8]
	v_add_co_u32 v13, vcc_lo, s6, v13
	v_add_co_ci_u32_e64 v14, null, s7, v14, vcc_lo
	global_load_dwordx2 v[13:14], v[13:14], off
	s_waitcnt vmcnt(0)
	v_mul_f32_e32 v29, v14, v14
	v_fmac_f32_e32 v29, v13, v13
	v_div_scale_f32 v30, null, v29, v29, 1.0
	v_div_scale_f32 v33, vcc_lo, 1.0, v29, 1.0
	v_rcp_f32_e32 v31, v30
	v_fma_f32 v32, -v30, v31, 1.0
	v_fmac_f32_e32 v31, v32, v31
	v_mul_f32_e32 v32, v33, v31
	v_fma_f32 v34, -v30, v32, v33
	v_fmac_f32_e32 v32, v34, v31
	v_fma_f32 v30, -v30, v32, v33
	v_div_fmas_f32 v30, v30, v31, v32
	v_mul_f32_e32 v31, v5, v14
	v_mul_f32_e64 v14, v14, -v26
	v_div_fixup_f32 v29, v30, v29, 1.0
	v_fmac_f32_e32 v31, v26, v13
	v_fmac_f32_e32 v14, v5, v13
	v_mul_f32_e32 v26, v31, v29
	v_mul_f32_e32 v5, v14, v29
.LBB36_20:                              ;   in Loop: Header=BB36_10 Depth=2
	s_or_b32 exec_lo, exec_lo, s1
	v_cmp_lt_i32_e64 s1, v10, v25
	s_mov_b32 s3, exec_lo
	v_cmpx_ge_i32_e64 v10, v25
	s_xor_b32 s3, exec_lo, s3
	s_cbranch_execnz .LBB36_33
; %bb.21:                               ;   in Loop: Header=BB36_10 Depth=2
	s_andn2_saveexec_b32 s3, s3
	s_cbranch_execnz .LBB36_49
.LBB36_22:                              ;   in Loop: Header=BB36_10 Depth=2
	s_or_b32 exec_lo, exec_lo, s3
	s_mov_b32 s3, exec_lo
	v_cmpx_eq_u32_e64 v1, v7
	s_cbranch_execz .LBB36_24
.LBB36_23:                              ;   in Loop: Header=BB36_10 Depth=2
	v_lshlrev_b64 v[13:14], 3, v[7:8]
	v_add_co_u32 v13, vcc_lo, s6, v13
	v_add_co_ci_u32_e64 v14, null, s7, v14, vcc_lo
	global_load_dwordx2 v[13:14], v[13:14], off
	s_waitcnt vmcnt(0)
	v_add_f32_e32 v27, v27, v13
	v_add_f32_e32 v28, v28, v14
.LBB36_24:                              ;   in Loop: Header=BB36_10 Depth=2
	s_or_b32 exec_lo, exec_lo, s3
	v_sub_f32_e32 v11, v11, v27
	v_sub_f32_e32 v14, v12, v28
                                        ; implicit-def: $vgpr13
	s_mov_b32 s3, exec_lo
	v_cmp_gt_f32_e32 vcc_lo, 0, v11
	v_cndmask_b32_e64 v11, v11, -v11, vcc_lo
	v_cmp_gt_f32_e32 vcc_lo, 0, v14
	v_cndmask_b32_e64 v12, v14, -v14, vcc_lo
	v_cmpx_ngt_f32_e32 v11, v12
	s_xor_b32 s44, exec_lo, s3
	s_cbranch_execz .LBB36_28
; %bb.25:                               ;   in Loop: Header=BB36_10 Depth=2
	v_mov_b32_e32 v13, 0
	s_mov_b32 s45, exec_lo
	v_cmpx_neq_f32_e32 0, v14
	s_cbranch_execz .LBB36_27
; %bb.26:                               ;   in Loop: Header=BB36_10 Depth=2
	v_div_scale_f32 v13, null, v12, v12, v11
	v_div_scale_f32 v28, vcc_lo, v11, v12, v11
	v_rcp_f32_e32 v14, v13
	v_fma_f32 v27, -v13, v14, 1.0
	v_fmac_f32_e32 v14, v27, v14
	v_mul_f32_e32 v27, v28, v14
	v_fma_f32 v29, -v13, v27, v28
	v_fmac_f32_e32 v27, v29, v14
	v_fma_f32 v13, -v13, v27, v28
	v_div_fmas_f32 v13, v13, v14, v27
	v_div_fixup_f32 v11, v13, v12, v11
	v_fma_f32 v11, v11, v11, 1.0
	v_mul_f32_e32 v13, 0x4f800000, v11
	v_cmp_gt_f32_e32 vcc_lo, 0xf800000, v11
	v_cndmask_b32_e32 v11, v11, v13, vcc_lo
	v_sqrt_f32_e32 v13, v11
	v_add_nc_u32_e32 v14, -1, v13
	v_add_nc_u32_e32 v27, 1, v13
	v_fma_f32 v28, -v14, v13, v11
	v_fma_f32 v29, -v27, v13, v11
	v_cmp_ge_f32_e64 s3, 0, v28
	v_cndmask_b32_e64 v13, v13, v14, s3
	v_cmp_lt_f32_e64 s3, 0, v29
	v_cndmask_b32_e64 v13, v13, v27, s3
	v_mul_f32_e32 v14, 0x37800000, v13
	v_cndmask_b32_e32 v13, v13, v14, vcc_lo
	v_cmp_class_f32_e64 vcc_lo, v11, 0x260
	v_cndmask_b32_e32 v11, v13, v11, vcc_lo
	v_mul_f32_e32 v13, v12, v11
.LBB36_27:                              ;   in Loop: Header=BB36_10 Depth=2
	s_or_b32 exec_lo, exec_lo, s45
                                        ; implicit-def: $vgpr11
                                        ; implicit-def: $vgpr12
.LBB36_28:                              ;   in Loop: Header=BB36_10 Depth=2
	s_andn2_saveexec_b32 s44, s44
	s_cbranch_execz .LBB36_30
; %bb.29:                               ;   in Loop: Header=BB36_10 Depth=2
	v_div_scale_f32 v13, null, v11, v11, v12
	v_div_scale_f32 v28, vcc_lo, v12, v11, v12
	v_rcp_f32_e32 v14, v13
	v_fma_f32 v27, -v13, v14, 1.0
	v_fmac_f32_e32 v14, v27, v14
	v_mul_f32_e32 v27, v28, v14
	v_fma_f32 v29, -v13, v27, v28
	v_fmac_f32_e32 v27, v29, v14
	v_fma_f32 v13, -v13, v27, v28
	v_div_fmas_f32 v13, v13, v14, v27
	v_div_fixup_f32 v12, v13, v11, v12
	v_fma_f32 v12, v12, v12, 1.0
	v_mul_f32_e32 v13, 0x4f800000, v12
	v_cmp_gt_f32_e32 vcc_lo, 0xf800000, v12
	v_cndmask_b32_e32 v12, v12, v13, vcc_lo
	v_sqrt_f32_e32 v13, v12
	v_add_nc_u32_e32 v14, -1, v13
	v_add_nc_u32_e32 v27, 1, v13
	v_fma_f32 v28, -v14, v13, v12
	v_fma_f32 v29, -v27, v13, v12
	v_cmp_ge_f32_e64 s3, 0, v28
	v_cndmask_b32_e64 v13, v13, v14, s3
	v_cmp_lt_f32_e64 s3, 0, v29
	v_cndmask_b32_e64 v13, v13, v27, s3
	v_mul_f32_e32 v14, 0x37800000, v13
	v_cndmask_b32_e32 v13, v13, v14, vcc_lo
	v_cmp_class_f32_e64 vcc_lo, v12, 0x260
	v_cndmask_b32_e32 v12, v13, v12, vcc_lo
	v_mul_f32_e32 v13, v11, v12
.LBB36_30:                              ;   in Loop: Header=BB36_10 Depth=2
	s_or_b32 exec_lo, exec_lo, s44
	v_cmp_gt_f32_e32 vcc_lo, 0, v26
                                        ; implicit-def: $vgpr14
	s_mov_b32 s3, exec_lo
	v_cndmask_b32_e64 v11, v26, -v26, vcc_lo
	v_cmp_gt_f32_e32 vcc_lo, 0, v5
	v_cndmask_b32_e64 v12, v5, -v5, vcc_lo
	v_cmpx_ngt_f32_e32 v11, v12
	s_xor_b32 s44, exec_lo, s3
	s_cbranch_execnz .LBB36_38
; %bb.31:                               ;   in Loop: Header=BB36_10 Depth=2
	s_andn2_saveexec_b32 s44, s44
	s_cbranch_execnz .LBB36_41
.LBB36_32:                              ;   in Loop: Header=BB36_10 Depth=2
	s_or_b32 exec_lo, exec_lo, s44
	v_cmp_class_f32_e64 s44, v14, 0x1f8
	s_and_saveexec_b32 s3, s44
	s_cbranch_execz .LBB36_9
	s_branch .LBB36_42
.LBB36_33:                              ;   in Loop: Header=BB36_10 Depth=2
	s_mov_b32 s44, exec_lo
	v_cmpx_lt_i32_e64 v2, v20
	s_cbranch_execz .LBB36_48
; %bb.34:                               ;   in Loop: Header=BB36_10 Depth=2
	v_mov_b32_e32 v29, v2
	s_mov_b32 s46, 0
                                        ; implicit-def: $sgpr45
                                        ; implicit-def: $sgpr48
                                        ; implicit-def: $sgpr47
	s_inst_prefetch 0x1
	s_branch .LBB36_36
	.p2align	6
.LBB36_35:                              ;   in Loop: Header=BB36_36 Depth=3
	s_or_b32 exec_lo, exec_lo, s49
	s_and_b32 s49, exec_lo, s48
	s_or_b32 s46, s49, s46
	s_andn2_b32 s45, s45, exec_lo
	s_and_b32 s49, s47, exec_lo
	s_or_b32 s45, s45, s49
	s_andn2_b32 exec_lo, exec_lo, s46
	s_cbranch_execz .LBB36_45
.LBB36_36:                              ;   Parent Loop BB36_6 Depth=1
                                        ;     Parent Loop BB36_10 Depth=2
                                        ; =>    This Inner Loop Header: Depth=3
	v_add_nc_u32_e32 v13, v6, v29
	s_or_b32 s47, s47, exec_lo
	s_or_b32 s48, s48, exec_lo
	s_mov_b32 s49, exec_lo
	v_ashrrev_i32_e32 v14, 31, v13
	v_lshlrev_b64 v[30:31], 2, v[13:14]
	v_add_co_u32 v30, vcc_lo, s20, v30
	v_add_co_ci_u32_e64 v31, null, s21, v31, vcc_lo
	global_load_dword v30, v[30:31], off
	s_waitcnt vmcnt(0)
	v_subrev_nc_u32_e32 v30, s38, v30
	v_cmpx_ne_u32_e64 v30, v7
	s_cbranch_execz .LBB36_35
; %bb.37:                               ;   in Loop: Header=BB36_36 Depth=3
	v_add_nc_u32_e32 v29, 1, v29
	s_andn2_b32 s48, s48, exec_lo
	s_andn2_b32 s47, s47, exec_lo
	v_cmp_ge_i32_e32 vcc_lo, v29, v20
	s_and_b32 s50, vcc_lo, exec_lo
	s_or_b32 s48, s48, s50
	s_branch .LBB36_35
.LBB36_38:                              ;   in Loop: Header=BB36_10 Depth=2
	v_mov_b32_e32 v14, 0
	s_mov_b32 s45, exec_lo
	v_cmpx_neq_f32_e32 0, v5
	s_cbranch_execz .LBB36_40
; %bb.39:                               ;   in Loop: Header=BB36_10 Depth=2
	v_div_scale_f32 v14, null, v12, v12, v11
	v_div_scale_f32 v29, vcc_lo, v11, v12, v11
	v_rcp_f32_e32 v27, v14
	v_fma_f32 v28, -v14, v27, 1.0
	v_fmac_f32_e32 v27, v28, v27
	v_mul_f32_e32 v28, v29, v27
	v_fma_f32 v30, -v14, v28, v29
	v_fmac_f32_e32 v28, v30, v27
	v_fma_f32 v14, -v14, v28, v29
	v_div_fmas_f32 v14, v14, v27, v28
	v_div_fixup_f32 v11, v14, v12, v11
	v_fma_f32 v11, v11, v11, 1.0
	v_mul_f32_e32 v14, 0x4f800000, v11
	v_cmp_gt_f32_e32 vcc_lo, 0xf800000, v11
	v_cndmask_b32_e32 v11, v11, v14, vcc_lo
	v_sqrt_f32_e32 v14, v11
	v_add_nc_u32_e32 v27, -1, v14
	v_add_nc_u32_e32 v28, 1, v14
	v_fma_f32 v29, -v27, v14, v11
	v_fma_f32 v30, -v28, v14, v11
	v_cmp_ge_f32_e64 s3, 0, v29
	v_cndmask_b32_e64 v14, v14, v27, s3
	v_cmp_lt_f32_e64 s3, 0, v30
	v_cndmask_b32_e64 v14, v14, v28, s3
	v_mul_f32_e32 v27, 0x37800000, v14
	v_cndmask_b32_e32 v14, v14, v27, vcc_lo
	v_cmp_class_f32_e64 vcc_lo, v11, 0x260
	v_cndmask_b32_e32 v11, v14, v11, vcc_lo
	v_mul_f32_e32 v14, v12, v11
.LBB36_40:                              ;   in Loop: Header=BB36_10 Depth=2
	s_or_b32 exec_lo, exec_lo, s45
                                        ; implicit-def: $vgpr11
                                        ; implicit-def: $vgpr12
	s_andn2_saveexec_b32 s44, s44
	s_cbranch_execz .LBB36_32
.LBB36_41:                              ;   in Loop: Header=BB36_10 Depth=2
	v_div_scale_f32 v14, null, v11, v11, v12
	v_div_scale_f32 v29, vcc_lo, v12, v11, v12
	v_rcp_f32_e32 v27, v14
	v_fma_f32 v28, -v14, v27, 1.0
	v_fmac_f32_e32 v27, v28, v27
	v_mul_f32_e32 v28, v29, v27
	v_fma_f32 v30, -v14, v28, v29
	v_fmac_f32_e32 v28, v30, v27
	v_fma_f32 v14, -v14, v28, v29
	v_div_fmas_f32 v14, v14, v27, v28
	v_div_fixup_f32 v12, v14, v11, v12
	v_fma_f32 v12, v12, v12, 1.0
	v_mul_f32_e32 v14, 0x4f800000, v12
	v_cmp_gt_f32_e32 vcc_lo, 0xf800000, v12
	v_cndmask_b32_e32 v12, v12, v14, vcc_lo
	v_sqrt_f32_e32 v14, v12
	v_add_nc_u32_e32 v27, -1, v14
	v_add_nc_u32_e32 v28, 1, v14
	v_fma_f32 v29, -v27, v14, v12
	v_fma_f32 v30, -v28, v14, v12
	v_cmp_ge_f32_e64 s3, 0, v29
	v_cndmask_b32_e64 v14, v14, v27, s3
	v_cmp_lt_f32_e64 s3, 0, v30
	v_cndmask_b32_e64 v14, v14, v28, s3
	v_mul_f32_e32 v27, 0x37800000, v14
	v_cndmask_b32_e32 v14, v14, v27, vcc_lo
	v_cmp_class_f32_e64 vcc_lo, v12, 0x260
	v_cndmask_b32_e32 v12, v14, v12, vcc_lo
	v_mul_f32_e32 v14, v11, v12
	s_or_b32 exec_lo, exec_lo, s44
	v_cmp_class_f32_e64 s44, v14, 0x1f8
	s_and_saveexec_b32 s3, s44
	s_cbranch_execz .LBB36_9
.LBB36_42:                              ;   in Loop: Header=BB36_10 Depth=2
	s_mov_b32 s44, 0
                                        ; implicit-def: $vgpr11_vgpr12
	s_and_saveexec_b32 s45, s2
	s_xor_b32 s2, exec_lo, s45
	s_cbranch_execnz .LBB36_56
; %bb.43:                               ;   in Loop: Header=BB36_10 Depth=2
	s_andn2_saveexec_b32 s1, s2
	s_cbranch_execnz .LBB36_69
.LBB36_44:                              ;   in Loop: Header=BB36_10 Depth=2
	s_or_b32 exec_lo, exec_lo, s1
	s_and_b32 exec_lo, exec_lo, s44
	s_cbranch_execz .LBB36_9
	s_branch .LBB36_78
.LBB36_45:                              ;   in Loop: Header=BB36_10 Depth=2
	s_inst_prefetch 0x2
	s_or_b32 exec_lo, exec_lo, s46
	s_and_saveexec_b32 s46, s45
	s_xor_b32 s45, exec_lo, s46
	s_cbranch_execz .LBB36_47
; %bb.46:                               ;   in Loop: Header=BB36_10 Depth=2
	v_lshlrev_b64 v[13:14], 3, v[13:14]
	v_lshlrev_b64 v[29:30], 3, v[7:8]
	v_add_co_u32 v13, vcc_lo, s22, v13
	v_add_co_ci_u32_e64 v14, null, s23, v14, vcc_lo
	v_add_co_u32 v29, vcc_lo, s6, v29
	v_add_co_ci_u32_e64 v30, null, s7, v30, vcc_lo
	global_load_dwordx2 v[13:14], v[13:14], off
	global_load_dwordx2 v[29:30], v[29:30], off
	s_waitcnt vmcnt(0)
	v_mul_f32_e64 v31, v30, -v14
	v_mul_f32_e32 v30, v30, v13
	v_fmac_f32_e32 v31, v13, v29
	v_fmac_f32_e32 v30, v14, v29
	v_add_f32_e32 v27, v27, v31
	v_add_f32_e32 v28, v28, v30
.LBB36_47:                              ;   in Loop: Header=BB36_10 Depth=2
	s_or_b32 exec_lo, exec_lo, s45
.LBB36_48:                              ;   in Loop: Header=BB36_10 Depth=2
	s_or_b32 exec_lo, exec_lo, s44
	s_andn2_saveexec_b32 s3, s3
	s_cbranch_execz .LBB36_22
.LBB36_49:                              ;   in Loop: Header=BB36_10 Depth=2
	v_mov_b32_e32 v29, v10
	s_mov_b32 s45, 0
                                        ; implicit-def: $sgpr44
                                        ; implicit-def: $sgpr47
                                        ; implicit-def: $sgpr46
	s_inst_prefetch 0x1
	s_branch .LBB36_51
	.p2align	6
.LBB36_50:                              ;   in Loop: Header=BB36_51 Depth=3
	s_or_b32 exec_lo, exec_lo, s48
	s_and_b32 s48, exec_lo, s47
	s_or_b32 s45, s48, s45
	s_andn2_b32 s44, s44, exec_lo
	s_and_b32 s48, s46, exec_lo
	s_or_b32 s44, s44, s48
	s_andn2_b32 exec_lo, exec_lo, s45
	s_cbranch_execz .LBB36_53
.LBB36_51:                              ;   Parent Loop BB36_6 Depth=1
                                        ;     Parent Loop BB36_10 Depth=2
                                        ; =>    This Inner Loop Header: Depth=3
	v_add_nc_u32_e32 v13, v9, v29
	s_or_b32 s46, s46, exec_lo
	s_or_b32 s47, s47, exec_lo
	s_mov_b32 s48, exec_lo
	v_ashrrev_i32_e32 v14, 31, v13
	v_lshlrev_b64 v[30:31], 2, v[13:14]
	v_add_co_u32 v30, vcc_lo, s12, v30
	v_add_co_ci_u32_e64 v31, null, s13, v31, vcc_lo
	global_load_dword v30, v[30:31], off
	s_waitcnt vmcnt(0)
	v_subrev_nc_u32_e32 v30, s39, v30
	v_cmpx_ne_u32_e64 v30, v1
	s_cbranch_execz .LBB36_50
; %bb.52:                               ;   in Loop: Header=BB36_51 Depth=3
	v_add_nc_u32_e32 v29, 1, v29
	s_andn2_b32 s47, s47, exec_lo
	s_andn2_b32 s46, s46, exec_lo
	v_cmp_ge_i32_e32 vcc_lo, v29, v25
	s_and_b32 s49, vcc_lo, exec_lo
	s_or_b32 s47, s47, s49
	s_branch .LBB36_50
.LBB36_53:                              ;   in Loop: Header=BB36_10 Depth=2
	s_inst_prefetch 0x2
	s_or_b32 exec_lo, exec_lo, s45
	s_and_saveexec_b32 s45, s44
	s_xor_b32 s44, exec_lo, s45
	s_cbranch_execz .LBB36_55
; %bb.54:                               ;   in Loop: Header=BB36_10 Depth=2
	v_lshlrev_b64 v[13:14], 3, v[13:14]
	v_add_co_u32 v13, vcc_lo, s14, v13
	v_add_co_ci_u32_e64 v14, null, s15, v14, vcc_lo
	global_load_dwordx2 v[13:14], v[13:14], off
	s_waitcnt vmcnt(0)
	v_add_f32_e32 v27, v27, v13
	v_add_f32_e32 v28, v28, v14
.LBB36_55:                              ;   in Loop: Header=BB36_10 Depth=2
	s_or_b32 exec_lo, exec_lo, s44
	s_or_b32 exec_lo, exec_lo, s3
	s_mov_b32 s3, exec_lo
	v_cmpx_eq_u32_e64 v1, v7
	s_cbranch_execnz .LBB36_23
	s_branch .LBB36_24
.LBB36_56:                              ;   in Loop: Header=BB36_10 Depth=2
	s_mov_b32 s45, exec_lo
                                        ; implicit-def: $vgpr11_vgpr12
	v_cmpx_ge_i32_e64 v1, v7
	s_xor_b32 s45, exec_lo, s45
	s_cbranch_execz .LBB36_58
; %bb.57:                               ;   in Loop: Header=BB36_10 Depth=2
	v_lshlrev_b64 v[7:8], 3, v[7:8]
	s_mov_b32 s44, exec_lo
                                        ; implicit-def: $vgpr10
                                        ; implicit-def: $vgpr9
                                        ; implicit-def: $vgpr25
	v_add_co_u32 v11, vcc_lo, s6, v7
	v_add_co_ci_u32_e64 v12, null, s7, v8, vcc_lo
	global_store_dword v[11:12], v26, off
                                        ; implicit-def: $vgpr26
.LBB36_58:                              ;   in Loop: Header=BB36_10 Depth=2
	s_andn2_saveexec_b32 s45, s45
	s_cbranch_execz .LBB36_68
; %bb.59:                               ;   in Loop: Header=BB36_10 Depth=2
	s_mov_b32 s47, s44
                                        ; implicit-def: $vgpr11_vgpr12
	s_and_saveexec_b32 s46, s1
	s_cbranch_execz .LBB36_67
; %bb.60:                               ;   in Loop: Header=BB36_10 Depth=2
	s_mov_b32 s47, 0
                                        ; implicit-def: $sgpr1
                                        ; implicit-def: $sgpr49
                                        ; implicit-def: $sgpr48
	s_inst_prefetch 0x1
	s_branch .LBB36_62
	.p2align	6
.LBB36_61:                              ;   in Loop: Header=BB36_62 Depth=3
	s_or_b32 exec_lo, exec_lo, s50
	s_and_b32 s50, exec_lo, s49
	s_or_b32 s47, s50, s47
	s_andn2_b32 s1, s1, exec_lo
	s_and_b32 s50, s48, exec_lo
	s_or_b32 s1, s1, s50
	s_andn2_b32 exec_lo, exec_lo, s47
	s_cbranch_execz .LBB36_64
.LBB36_62:                              ;   Parent Loop BB36_6 Depth=1
                                        ;     Parent Loop BB36_10 Depth=2
                                        ; =>    This Inner Loop Header: Depth=3
	v_add_nc_u32_e32 v7, v9, v10
	s_or_b32 s48, s48, exec_lo
	s_or_b32 s49, s49, exec_lo
	s_mov_b32 s50, exec_lo
	v_ashrrev_i32_e32 v8, 31, v7
	v_lshlrev_b64 v[11:12], 2, v[7:8]
	v_add_co_u32 v11, vcc_lo, s12, v11
	v_add_co_ci_u32_e64 v12, null, s13, v12, vcc_lo
	global_load_dword v2, v[11:12], off
	s_waitcnt vmcnt(0)
	v_subrev_nc_u32_e32 v2, s39, v2
	v_cmpx_ne_u32_e64 v2, v1
	s_cbranch_execz .LBB36_61
; %bb.63:                               ;   in Loop: Header=BB36_62 Depth=3
	v_add_nc_u32_e32 v10, 1, v10
	s_andn2_b32 s49, s49, exec_lo
	s_andn2_b32 s48, s48, exec_lo
	v_cmp_ge_i32_e32 vcc_lo, v10, v25
	s_and_b32 s51, vcc_lo, exec_lo
	s_or_b32 s49, s49, s51
	s_branch .LBB36_61
.LBB36_64:                              ;   in Loop: Header=BB36_10 Depth=2
	s_inst_prefetch 0x2
	s_or_b32 exec_lo, exec_lo, s47
	s_mov_b32 s47, s44
                                        ; implicit-def: $vgpr11_vgpr12
	s_and_saveexec_b32 s48, s1
	s_xor_b32 s1, exec_lo, s48
	s_cbranch_execz .LBB36_66
; %bb.65:                               ;   in Loop: Header=BB36_10 Depth=2
	v_lshlrev_b64 v[7:8], 3, v[7:8]
	s_or_b32 s47, s44, exec_lo
	v_add_co_u32 v11, vcc_lo, s14, v7
	v_add_co_ci_u32_e64 v12, null, s15, v8, vcc_lo
	global_store_dword v[11:12], v26, off
.LBB36_66:                              ;   in Loop: Header=BB36_10 Depth=2
	s_or_b32 exec_lo, exec_lo, s1
	s_andn2_b32 s1, s44, exec_lo
	s_and_b32 s47, s47, exec_lo
	s_or_b32 s47, s1, s47
.LBB36_67:                              ;   in Loop: Header=BB36_10 Depth=2
	s_or_b32 exec_lo, exec_lo, s46
	s_andn2_b32 s1, s44, exec_lo
	s_and_b32 s44, s47, exec_lo
	s_or_b32 s44, s1, s44
.LBB36_68:                              ;   in Loop: Header=BB36_10 Depth=2
	s_or_b32 exec_lo, exec_lo, s45
	s_and_b32 s44, s44, exec_lo
                                        ; implicit-def: $vgpr26
                                        ; implicit-def: $vgpr7_vgpr8
	s_andn2_saveexec_b32 s1, s2
	s_cbranch_execz .LBB36_44
.LBB36_69:                              ;   in Loop: Header=BB36_10 Depth=2
	s_mov_b32 s45, s44
	s_mov_b32 s2, exec_lo
                                        ; implicit-def: $vgpr11_vgpr12
	v_cmpx_lt_i32_e64 v2, v20
	s_cbranch_execz .LBB36_77
; %bb.70:                               ;   in Loop: Header=BB36_10 Depth=2
	s_mov_b32 s46, 0
                                        ; implicit-def: $sgpr45
                                        ; implicit-def: $sgpr48
                                        ; implicit-def: $sgpr47
	s_inst_prefetch 0x1
	s_branch .LBB36_72
	.p2align	6
.LBB36_71:                              ;   in Loop: Header=BB36_72 Depth=3
	s_or_b32 exec_lo, exec_lo, s49
	s_and_b32 s49, exec_lo, s48
	s_or_b32 s46, s49, s46
	s_andn2_b32 s45, s45, exec_lo
	s_and_b32 s49, s47, exec_lo
	s_or_b32 s45, s45, s49
	s_andn2_b32 exec_lo, exec_lo, s46
	s_cbranch_execz .LBB36_74
.LBB36_72:                              ;   Parent Loop BB36_6 Depth=1
                                        ;     Parent Loop BB36_10 Depth=2
                                        ; =>    This Inner Loop Header: Depth=3
	v_add_nc_u32_e32 v8, v6, v2
	s_or_b32 s47, s47, exec_lo
	s_or_b32 s48, s48, exec_lo
	s_mov_b32 s49, exec_lo
	v_ashrrev_i32_e32 v9, 31, v8
	v_lshlrev_b64 v[10:11], 2, v[8:9]
	v_add_co_u32 v10, vcc_lo, s20, v10
	v_add_co_ci_u32_e64 v11, null, s21, v11, vcc_lo
	global_load_dword v10, v[10:11], off
	s_waitcnt vmcnt(0)
	v_subrev_nc_u32_e32 v10, s38, v10
	v_cmpx_ne_u32_e64 v10, v7
	s_cbranch_execz .LBB36_71
; %bb.73:                               ;   in Loop: Header=BB36_72 Depth=3
	v_add_nc_u32_e32 v2, 1, v2
	s_andn2_b32 s48, s48, exec_lo
	s_andn2_b32 s47, s47, exec_lo
	v_cmp_ge_i32_e32 vcc_lo, v2, v20
	s_and_b32 s50, vcc_lo, exec_lo
	s_or_b32 s48, s48, s50
	s_branch .LBB36_71
.LBB36_74:                              ;   in Loop: Header=BB36_10 Depth=2
	s_inst_prefetch 0x2
	s_or_b32 exec_lo, exec_lo, s46
	s_mov_b32 s46, s44
                                        ; implicit-def: $vgpr11_vgpr12
	s_and_saveexec_b32 s47, s45
	s_xor_b32 s45, exec_lo, s47
	s_cbranch_execz .LBB36_76
; %bb.75:                               ;   in Loop: Header=BB36_10 Depth=2
	v_lshlrev_b64 v[7:8], 3, v[8:9]
	s_or_b32 s46, s44, exec_lo
	v_add_co_u32 v11, vcc_lo, s22, v7
	v_add_co_ci_u32_e64 v12, null, s23, v8, vcc_lo
	global_store_dword v[11:12], v26, off
.LBB36_76:                              ;   in Loop: Header=BB36_10 Depth=2
	s_or_b32 exec_lo, exec_lo, s45
	s_andn2_b32 s45, s44, exec_lo
	s_and_b32 s46, s46, exec_lo
	s_or_b32 s45, s45, s46
.LBB36_77:                              ;   in Loop: Header=BB36_10 Depth=2
	s_or_b32 exec_lo, exec_lo, s2
	s_andn2_b32 s2, s44, exec_lo
	s_and_b32 s44, s45, exec_lo
	s_or_b32 s44, s2, s44
	s_or_b32 exec_lo, exec_lo, s1
	s_and_b32 exec_lo, exec_lo, s44
	s_cbranch_execz .LBB36_9
.LBB36_78:                              ;   in Loop: Header=BB36_10 Depth=2
	global_store_dword v[11:12], v5, off offset:4
	s_branch .LBB36_9
.LBB36_79:
	s_or_b32 exec_lo, exec_lo, s40
.LBB36_80:
	s_or_b32 exec_lo, exec_lo, s35
.LBB36_81:
	s_or_b32 exec_lo, exec_lo, s33
	v_mbcnt_lo_u32_b32 v1, -1, 0
	s_mov_b32 s0, exec_lo
	v_xor_b32_e32 v2, 1, v1
	v_cmp_gt_i32_e32 vcc_lo, 32, v2
	v_cndmask_b32_e32 v1, v1, v2, vcc_lo
	v_lshlrev_b32_e32 v1, 2, v1
	ds_bpermute_b32 v1, v1, v17
	v_cmpx_ne_u32_e32 0, v16
	s_cbranch_execz .LBB36_83
; %bb.82:
	s_waitcnt lgkmcnt(0)
	v_cmp_lt_f32_e32 vcc_lo, v17, v1
	v_lshlrev_b32_e32 v2, 2, v15
	v_cndmask_b32_e32 v1, v17, v1, vcc_lo
	ds_write_b32 v2, v1
.LBB36_83:
	s_or_b32 exec_lo, exec_lo, s0
	s_waitcnt lgkmcnt(0)
	v_lshlrev_b32_e32 v1, 2, v0
	s_mov_b32 s0, exec_lo
	s_waitcnt_vscnt null, 0x0
	s_barrier
	buffer_gl0_inv
	v_cmpx_gt_u32_e32 0x100, v0
	s_cbranch_execz .LBB36_85
; %bb.84:
	ds_read2st64_b32 v[2:3], v1 offset1:4
	s_waitcnt lgkmcnt(0)
	v_cmp_lt_f32_e32 vcc_lo, v2, v3
	v_cndmask_b32_e32 v2, v2, v3, vcc_lo
	ds_write_b32 v1, v2
.LBB36_85:
	s_or_b32 exec_lo, exec_lo, s0
	s_mov_b32 s0, exec_lo
	s_waitcnt lgkmcnt(0)
	s_barrier
	buffer_gl0_inv
	v_cmpx_gt_u32_e32 0x80, v0
	s_cbranch_execz .LBB36_87
; %bb.86:
	ds_read2st64_b32 v[2:3], v1 offset1:2
	s_waitcnt lgkmcnt(0)
	v_cmp_lt_f32_e32 vcc_lo, v2, v3
	v_cndmask_b32_e32 v2, v2, v3, vcc_lo
	ds_write_b32 v1, v2
.LBB36_87:
	s_or_b32 exec_lo, exec_lo, s0
	s_mov_b32 s0, exec_lo
	s_waitcnt lgkmcnt(0)
	s_barrier
	buffer_gl0_inv
	v_cmpx_gt_u32_e32 64, v0
	s_cbranch_execz .LBB36_89
; %bb.88:
	ds_read2st64_b32 v[2:3], v1 offset1:1
	s_waitcnt lgkmcnt(0)
	v_cmp_lt_f32_e32 vcc_lo, v2, v3
	v_cndmask_b32_e32 v2, v2, v3, vcc_lo
	ds_write_b32 v1, v2
.LBB36_89:
	s_or_b32 exec_lo, exec_lo, s0
	s_mov_b32 s0, exec_lo
	s_waitcnt lgkmcnt(0)
	s_barrier
	buffer_gl0_inv
	v_cmpx_gt_u32_e32 32, v0
	s_cbranch_execz .LBB36_91
; %bb.90:
	ds_read2_b32 v[2:3], v1 offset1:32
	s_waitcnt lgkmcnt(0)
	v_cmp_lt_f32_e32 vcc_lo, v2, v3
	v_cndmask_b32_e32 v2, v2, v3, vcc_lo
	ds_write_b32 v1, v2
.LBB36_91:
	s_or_b32 exec_lo, exec_lo, s0
	s_mov_b32 s0, exec_lo
	s_waitcnt lgkmcnt(0)
	s_barrier
	buffer_gl0_inv
	v_cmpx_gt_u32_e32 16, v0
	s_cbranch_execz .LBB36_93
; %bb.92:
	ds_read2_b32 v[2:3], v1 offset1:16
	s_waitcnt lgkmcnt(0)
	v_cmp_lt_f32_e32 vcc_lo, v2, v3
	v_cndmask_b32_e32 v2, v2, v3, vcc_lo
	ds_write_b32 v1, v2
.LBB36_93:
	s_or_b32 exec_lo, exec_lo, s0
	s_mov_b32 s0, exec_lo
	s_waitcnt lgkmcnt(0)
	;; [unrolled: 14-line block ×4, first 2 shown]
	s_barrier
	buffer_gl0_inv
	v_cmpx_gt_u32_e32 2, v0
	s_cbranch_execz .LBB36_99
; %bb.98:
	ds_read2_b32 v[2:3], v1 offset1:2
	s_waitcnt lgkmcnt(0)
	v_cmp_lt_f32_e32 vcc_lo, v2, v3
	v_cndmask_b32_e32 v2, v2, v3, vcc_lo
	ds_write_b32 v1, v2
.LBB36_99:
	s_or_b32 exec_lo, exec_lo, s0
	v_cmp_eq_u32_e32 vcc_lo, 0, v0
	s_waitcnt lgkmcnt(0)
	s_barrier
	buffer_gl0_inv
	s_and_saveexec_b32 s1, vcc_lo
	s_cbranch_execz .LBB36_101
; %bb.100:
	v_mov_b32_e32 v2, 0
	ds_read_b64 v[0:1], v2
	s_waitcnt lgkmcnt(0)
	v_cmp_lt_f32_e64 s0, v0, v1
	v_cndmask_b32_e64 v0, v0, v1, s0
	ds_write_b32 v2, v0
.LBB36_101:
	s_or_b32 exec_lo, exec_lo, s1
	s_waitcnt lgkmcnt(0)
	s_barrier
	buffer_gl0_inv
	s_and_saveexec_b32 s0, vcc_lo
	s_cbranch_execz .LBB36_105
; %bb.102:
	v_mbcnt_lo_u32_b32 v0, exec_lo, 0
	s_mov_b32 s6, 0
	v_cmp_eq_u32_e32 vcc_lo, 0, v0
	s_and_b32 exec_lo, exec_lo, vcc_lo
	s_cbranch_execz .LBB36_105
; %bb.103:
	s_load_dwordx4 s[0:3], s[4:5], 0x88
	v_mov_b32_e32 v2, 0
	s_waitcnt lgkmcnt(0)
	s_clause 0x1
	global_load_dword v0, v2, s[2:3]
	global_load_dword v1, v2, s[0:1]
	ds_read_b32 v3, v2
	s_waitcnt vmcnt(1) lgkmcnt(0)
	v_div_scale_f32 v4, null, v0, v0, v3
	v_rcp_f32_e32 v5, v4
	v_fma_f32 v6, -v4, v5, 1.0
	v_fmac_f32_e32 v5, v6, v5
	v_div_scale_f32 v6, vcc_lo, v3, v0, v3
	v_mul_f32_e32 v7, v6, v5
	v_fma_f32 v8, -v4, v7, v6
	v_fmac_f32_e32 v7, v8, v5
	v_fma_f32 v4, -v4, v7, v6
	v_div_fmas_f32 v4, v4, v5, v7
	v_div_fixup_f32 v0, v4, v0, v3
	v_max_f32_e32 v3, v0, v0
.LBB36_104:                             ; =>This Inner Loop Header: Depth=1
	s_waitcnt vmcnt(0)
	v_max_f32_e32 v0, v1, v1
	v_max_f32_e32 v0, v0, v3
	global_atomic_cmpswap v0, v2, v[0:1], s[0:1] glc
	s_waitcnt vmcnt(0)
	v_cmp_eq_u32_e32 vcc_lo, v0, v1
	v_mov_b32_e32 v1, v0
	s_or_b32 s6, vcc_lo, s6
	s_andn2_b32 exec_lo, exec_lo, s6
	s_cbranch_execnz .LBB36_104
.LBB36_105:
	s_endpgm
	.section	.rodata,"a",@progbits
	.p2align	6, 0x0
	.amdhsa_kernel _ZN9rocsparseL17kernel_correctionILi1024ELi2E21rocsparse_complex_numIfEiiEEvT3_T2_PKS4_S6_PKS3_PKT1_21rocsparse_index_base_S6_S6_S8_PS9_SC_S6_S6_S8_SD_SC_SD_PNS_15floating_traitsIS9_E6data_tEPKSG_
		.amdhsa_group_segment_fixed_size 2048
		.amdhsa_private_segment_fixed_size 0
		.amdhsa_kernarg_size 152
		.amdhsa_user_sgpr_count 6
		.amdhsa_user_sgpr_private_segment_buffer 1
		.amdhsa_user_sgpr_dispatch_ptr 0
		.amdhsa_user_sgpr_queue_ptr 0
		.amdhsa_user_sgpr_kernarg_segment_ptr 1
		.amdhsa_user_sgpr_dispatch_id 0
		.amdhsa_user_sgpr_flat_scratch_init 0
		.amdhsa_user_sgpr_private_segment_size 0
		.amdhsa_wavefront_size32 1
		.amdhsa_uses_dynamic_stack 0
		.amdhsa_system_sgpr_private_segment_wavefront_offset 0
		.amdhsa_system_sgpr_workgroup_id_x 1
		.amdhsa_system_sgpr_workgroup_id_y 0
		.amdhsa_system_sgpr_workgroup_id_z 0
		.amdhsa_system_sgpr_workgroup_info 0
		.amdhsa_system_vgpr_workitem_id 0
		.amdhsa_next_free_vgpr 35
		.amdhsa_next_free_sgpr 52
		.amdhsa_reserve_vcc 1
		.amdhsa_reserve_flat_scratch 0
		.amdhsa_float_round_mode_32 0
		.amdhsa_float_round_mode_16_64 0
		.amdhsa_float_denorm_mode_32 3
		.amdhsa_float_denorm_mode_16_64 3
		.amdhsa_dx10_clamp 1
		.amdhsa_ieee_mode 1
		.amdhsa_fp16_overflow 0
		.amdhsa_workgroup_processor_mode 1
		.amdhsa_memory_ordered 1
		.amdhsa_forward_progress 1
		.amdhsa_shared_vgpr_count 0
		.amdhsa_exception_fp_ieee_invalid_op 0
		.amdhsa_exception_fp_denorm_src 0
		.amdhsa_exception_fp_ieee_div_zero 0
		.amdhsa_exception_fp_ieee_overflow 0
		.amdhsa_exception_fp_ieee_underflow 0
		.amdhsa_exception_fp_ieee_inexact 0
		.amdhsa_exception_int_div_zero 0
	.end_amdhsa_kernel
	.section	.text._ZN9rocsparseL17kernel_correctionILi1024ELi2E21rocsparse_complex_numIfEiiEEvT3_T2_PKS4_S6_PKS3_PKT1_21rocsparse_index_base_S6_S6_S8_PS9_SC_S6_S6_S8_SD_SC_SD_PNS_15floating_traitsIS9_E6data_tEPKSG_,"axG",@progbits,_ZN9rocsparseL17kernel_correctionILi1024ELi2E21rocsparse_complex_numIfEiiEEvT3_T2_PKS4_S6_PKS3_PKT1_21rocsparse_index_base_S6_S6_S8_PS9_SC_S6_S6_S8_SD_SC_SD_PNS_15floating_traitsIS9_E6data_tEPKSG_,comdat
.Lfunc_end36:
	.size	_ZN9rocsparseL17kernel_correctionILi1024ELi2E21rocsparse_complex_numIfEiiEEvT3_T2_PKS4_S6_PKS3_PKT1_21rocsparse_index_base_S6_S6_S8_PS9_SC_S6_S6_S8_SD_SC_SD_PNS_15floating_traitsIS9_E6data_tEPKSG_, .Lfunc_end36-_ZN9rocsparseL17kernel_correctionILi1024ELi2E21rocsparse_complex_numIfEiiEEvT3_T2_PKS4_S6_PKS3_PKT1_21rocsparse_index_base_S6_S6_S8_PS9_SC_S6_S6_S8_SD_SC_SD_PNS_15floating_traitsIS9_E6data_tEPKSG_
                                        ; -- End function
	.set _ZN9rocsparseL17kernel_correctionILi1024ELi2E21rocsparse_complex_numIfEiiEEvT3_T2_PKS4_S6_PKS3_PKT1_21rocsparse_index_base_S6_S6_S8_PS9_SC_S6_S6_S8_SD_SC_SD_PNS_15floating_traitsIS9_E6data_tEPKSG_.num_vgpr, 35
	.set _ZN9rocsparseL17kernel_correctionILi1024ELi2E21rocsparse_complex_numIfEiiEEvT3_T2_PKS4_S6_PKS3_PKT1_21rocsparse_index_base_S6_S6_S8_PS9_SC_S6_S6_S8_SD_SC_SD_PNS_15floating_traitsIS9_E6data_tEPKSG_.num_agpr, 0
	.set _ZN9rocsparseL17kernel_correctionILi1024ELi2E21rocsparse_complex_numIfEiiEEvT3_T2_PKS4_S6_PKS3_PKT1_21rocsparse_index_base_S6_S6_S8_PS9_SC_S6_S6_S8_SD_SC_SD_PNS_15floating_traitsIS9_E6data_tEPKSG_.numbered_sgpr, 52
	.set _ZN9rocsparseL17kernel_correctionILi1024ELi2E21rocsparse_complex_numIfEiiEEvT3_T2_PKS4_S6_PKS3_PKT1_21rocsparse_index_base_S6_S6_S8_PS9_SC_S6_S6_S8_SD_SC_SD_PNS_15floating_traitsIS9_E6data_tEPKSG_.num_named_barrier, 0
	.set _ZN9rocsparseL17kernel_correctionILi1024ELi2E21rocsparse_complex_numIfEiiEEvT3_T2_PKS4_S6_PKS3_PKT1_21rocsparse_index_base_S6_S6_S8_PS9_SC_S6_S6_S8_SD_SC_SD_PNS_15floating_traitsIS9_E6data_tEPKSG_.private_seg_size, 0
	.set _ZN9rocsparseL17kernel_correctionILi1024ELi2E21rocsparse_complex_numIfEiiEEvT3_T2_PKS4_S6_PKS3_PKT1_21rocsparse_index_base_S6_S6_S8_PS9_SC_S6_S6_S8_SD_SC_SD_PNS_15floating_traitsIS9_E6data_tEPKSG_.uses_vcc, 1
	.set _ZN9rocsparseL17kernel_correctionILi1024ELi2E21rocsparse_complex_numIfEiiEEvT3_T2_PKS4_S6_PKS3_PKT1_21rocsparse_index_base_S6_S6_S8_PS9_SC_S6_S6_S8_SD_SC_SD_PNS_15floating_traitsIS9_E6data_tEPKSG_.uses_flat_scratch, 0
	.set _ZN9rocsparseL17kernel_correctionILi1024ELi2E21rocsparse_complex_numIfEiiEEvT3_T2_PKS4_S6_PKS3_PKT1_21rocsparse_index_base_S6_S6_S8_PS9_SC_S6_S6_S8_SD_SC_SD_PNS_15floating_traitsIS9_E6data_tEPKSG_.has_dyn_sized_stack, 0
	.set _ZN9rocsparseL17kernel_correctionILi1024ELi2E21rocsparse_complex_numIfEiiEEvT3_T2_PKS4_S6_PKS3_PKT1_21rocsparse_index_base_S6_S6_S8_PS9_SC_S6_S6_S8_SD_SC_SD_PNS_15floating_traitsIS9_E6data_tEPKSG_.has_recursion, 0
	.set _ZN9rocsparseL17kernel_correctionILi1024ELi2E21rocsparse_complex_numIfEiiEEvT3_T2_PKS4_S6_PKS3_PKT1_21rocsparse_index_base_S6_S6_S8_PS9_SC_S6_S6_S8_SD_SC_SD_PNS_15floating_traitsIS9_E6data_tEPKSG_.has_indirect_call, 0
	.section	.AMDGPU.csdata,"",@progbits
; Kernel info:
; codeLenInByte = 4448
; TotalNumSgprs: 54
; NumVgprs: 35
; ScratchSize: 0
; MemoryBound: 0
; FloatMode: 240
; IeeeMode: 1
; LDSByteSize: 2048 bytes/workgroup (compile time only)
; SGPRBlocks: 0
; VGPRBlocks: 4
; NumSGPRsForWavesPerEU: 54
; NumVGPRsForWavesPerEU: 35
; Occupancy: 16
; WaveLimiterHint : 1
; COMPUTE_PGM_RSRC2:SCRATCH_EN: 0
; COMPUTE_PGM_RSRC2:USER_SGPR: 6
; COMPUTE_PGM_RSRC2:TRAP_HANDLER: 0
; COMPUTE_PGM_RSRC2:TGID_X_EN: 1
; COMPUTE_PGM_RSRC2:TGID_Y_EN: 0
; COMPUTE_PGM_RSRC2:TGID_Z_EN: 0
; COMPUTE_PGM_RSRC2:TIDIG_COMP_CNT: 0
	.section	.text._ZN9rocsparseL17kernel_correctionILi1024ELi4E21rocsparse_complex_numIfEiiEEvT3_T2_PKS4_S6_PKS3_PKT1_21rocsparse_index_base_S6_S6_S8_PS9_SC_S6_S6_S8_SD_SC_SD_PNS_15floating_traitsIS9_E6data_tEPKSG_,"axG",@progbits,_ZN9rocsparseL17kernel_correctionILi1024ELi4E21rocsparse_complex_numIfEiiEEvT3_T2_PKS4_S6_PKS3_PKT1_21rocsparse_index_base_S6_S6_S8_PS9_SC_S6_S6_S8_SD_SC_SD_PNS_15floating_traitsIS9_E6data_tEPKSG_,comdat
	.globl	_ZN9rocsparseL17kernel_correctionILi1024ELi4E21rocsparse_complex_numIfEiiEEvT3_T2_PKS4_S6_PKS3_PKT1_21rocsparse_index_base_S6_S6_S8_PS9_SC_S6_S6_S8_SD_SC_SD_PNS_15floating_traitsIS9_E6data_tEPKSG_ ; -- Begin function _ZN9rocsparseL17kernel_correctionILi1024ELi4E21rocsparse_complex_numIfEiiEEvT3_T2_PKS4_S6_PKS3_PKT1_21rocsparse_index_base_S6_S6_S8_PS9_SC_S6_S6_S8_SD_SC_SD_PNS_15floating_traitsIS9_E6data_tEPKSG_
	.p2align	8
	.type	_ZN9rocsparseL17kernel_correctionILi1024ELi4E21rocsparse_complex_numIfEiiEEvT3_T2_PKS4_S6_PKS3_PKT1_21rocsparse_index_base_S6_S6_S8_PS9_SC_S6_S6_S8_SD_SC_SD_PNS_15floating_traitsIS9_E6data_tEPKSG_,@function
_ZN9rocsparseL17kernel_correctionILi1024ELi4E21rocsparse_complex_numIfEiiEEvT3_T2_PKS4_S6_PKS3_PKT1_21rocsparse_index_base_S6_S6_S8_PS9_SC_S6_S6_S8_SD_SC_SD_PNS_15floating_traitsIS9_E6data_tEPKSG_: ; @_ZN9rocsparseL17kernel_correctionILi1024ELi4E21rocsparse_complex_numIfEiiEEvT3_T2_PKS4_S6_PKS3_PKT1_21rocsparse_index_base_S6_S6_S8_PS9_SC_S6_S6_S8_SD_SC_SD_PNS_15floating_traitsIS9_E6data_tEPKSG_
; %bb.0:
	s_load_dword s34, s[4:5], 0x0
	v_lshrrev_b32_e32 v15, 2, v0
	s_lshl_b32 s36, s6, 10
	v_and_b32_e32 v16, 3, v0
	v_mov_b32_e32 v17, 0
	s_mov_b32 s33, exec_lo
	v_or_b32_e32 v1, s36, v15
	s_waitcnt lgkmcnt(0)
	v_cmpx_gt_i32_e64 s34, v1
	s_cbranch_execz .LBB37_81
; %bb.1:
	v_mov_b32_e32 v17, 0
	s_addk_i32 s36, 0x400
	s_mov_b32 s35, exec_lo
	v_cmpx_gt_u32_e64 s36, v1
	s_cbranch_execz .LBB37_80
; %bb.2:
	s_clause 0x6
	s_load_dword s37, s[4:5], 0x28
	s_load_dwordx8 s[8:15], s[4:5], 0x58
	s_load_dwordx8 s[16:23], s[4:5], 0x30
	;; [unrolled: 1-line block ×3, first 2 shown]
	s_load_dword s38, s[4:5], 0x50
	s_load_dwordx2 s[6:7], s[4:5], 0x80
	s_load_dword s39, s[4:5], 0x78
	v_mov_b32_e32 v3, 0
	v_mov_b32_e32 v17, 0
	s_mov_b32 s40, 0
	s_waitcnt lgkmcnt(0)
	v_subrev_nc_u32_e32 v18, s37, v16
	s_branch .LBB37_6
.LBB37_3:                               ;   in Loop: Header=BB37_6 Depth=1
	s_or_b32 exec_lo, exec_lo, s43
.LBB37_4:                               ;   in Loop: Header=BB37_6 Depth=1
	s_or_b32 exec_lo, exec_lo, s42
.LBB37_5:                               ;   in Loop: Header=BB37_6 Depth=1
	s_or_b32 exec_lo, exec_lo, s41
	v_add_nc_u32_e32 v1, 0x100, v1
	v_cmp_le_u32_e32 vcc_lo, s36, v1
	s_or_b32 s40, vcc_lo, s40
	s_andn2_b32 exec_lo, exec_lo, s40
	s_cbranch_execz .LBB37_79
.LBB37_6:                               ; =>This Loop Header: Depth=1
                                        ;     Child Loop BB37_10 Depth 2
                                        ;       Child Loop BB37_14 Depth 3
                                        ;       Child Loop BB37_36 Depth 3
	;; [unrolled: 1-line block ×5, first 2 shown]
	s_mov_b32 s41, exec_lo
	v_cmpx_gt_i32_e64 s34, v1
	s_cbranch_execz .LBB37_5
; %bb.7:                                ;   in Loop: Header=BB37_6 Depth=1
	v_ashrrev_i32_e32 v2, 31, v1
	s_mov_b32 s42, exec_lo
	v_lshlrev_b64 v[5:6], 2, v[1:2]
	v_add_co_u32 v7, vcc_lo, s24, v5
	v_add_co_ci_u32_e64 v8, null, s25, v6, vcc_lo
	v_add_co_u32 v9, vcc_lo, s26, v5
	v_add_co_ci_u32_e64 v10, null, s27, v6, vcc_lo
	global_load_dword v2, v[7:8], off
	global_load_dword v7, v[9:10], off
	s_waitcnt vmcnt(1)
	v_add_nc_u32_e32 v4, v18, v2
	s_waitcnt vmcnt(0)
	v_subrev_nc_u32_e32 v19, s37, v7
	v_cmpx_lt_i32_e64 v4, v19
	s_cbranch_execz .LBB37_4
; %bb.8:                                ;   in Loop: Header=BB37_6 Depth=1
	v_add_co_u32 v7, vcc_lo, s16, v5
	v_add_co_ci_u32_e64 v8, null, s17, v6, vcc_lo
	v_add_co_u32 v5, vcc_lo, s18, v5
	v_add_co_ci_u32_e64 v6, null, s19, v6, vcc_lo
	global_load_dword v2, v[7:8], off
	s_mov_b32 s43, 0
	global_load_dword v5, v[5:6], off
	s_waitcnt vmcnt(1)
	v_subrev_nc_u32_e32 v6, s38, v2
	s_waitcnt vmcnt(0)
	v_sub_nc_u32_e32 v20, v5, v2
	v_ashrrev_i32_e32 v7, 31, v6
	v_cmp_lt_i32_e64 s0, 0, v20
	v_lshlrev_b64 v[8:9], 2, v[6:7]
	v_lshlrev_b64 v[10:11], 3, v[6:7]
	v_add_co_u32 v21, vcc_lo, s20, v8
	v_add_co_ci_u32_e64 v22, null, s21, v9, vcc_lo
	v_add_co_u32 v23, vcc_lo, s22, v10
	v_add_co_ci_u32_e64 v24, null, s23, v11, vcc_lo
	s_branch .LBB37_10
.LBB37_9:                               ;   in Loop: Header=BB37_10 Depth=2
	s_or_b32 exec_lo, exec_lo, s3
	v_add_nc_u32_e32 v4, 4, v4
	v_cmp_nlg_f32_e64 s2, 0x7f800000, |v13|
	v_cmp_gt_f32_e32 vcc_lo, v17, v13
	v_cmp_ge_i32_e64 s1, v4, v19
	s_or_b32 vcc_lo, s2, vcc_lo
	v_cndmask_b32_e32 v17, v13, v17, vcc_lo
	s_or_b32 s43, s1, s43
	s_andn2_b32 exec_lo, exec_lo, s43
	s_cbranch_execz .LBB37_3
.LBB37_10:                              ;   Parent Loop BB37_6 Depth=1
                                        ; =>  This Loop Header: Depth=2
                                        ;       Child Loop BB37_14 Depth 3
                                        ;       Child Loop BB37_36 Depth 3
	;; [unrolled: 1-line block ×5, first 2 shown]
	v_ashrrev_i32_e32 v5, 31, v4
	v_mov_b32_e32 v27, 0
	v_mov_b32_e32 v28, 0
	v_lshlrev_b64 v[7:8], 2, v[4:5]
	v_add_co_u32 v7, vcc_lo, s28, v7
	v_add_co_ci_u32_e64 v8, null, s29, v8, vcc_lo
	global_load_dword v2, v[7:8], off
	s_waitcnt vmcnt(0)
	v_subrev_nc_u32_e32 v7, s37, v2
	v_mov_b32_e32 v2, 0
	v_ashrrev_i32_e32 v8, 31, v7
	v_lshlrev_b64 v[9:10], 2, v[7:8]
	v_add_co_u32 v11, vcc_lo, s8, v9
	v_add_co_ci_u32_e64 v12, null, s9, v10, vcc_lo
	v_add_co_u32 v9, vcc_lo, s10, v9
	v_add_co_ci_u32_e64 v10, null, s11, v10, vcc_lo
	global_load_dword v11, v[11:12], off
	global_load_dword v10, v[9:10], off
	s_waitcnt vmcnt(1)
	v_subrev_nc_u32_e32 v9, s39, v11
	s_waitcnt vmcnt(0)
	v_sub_nc_u32_e32 v25, v10, v11
	v_mov_b32_e32 v10, v2
	s_and_saveexec_b32 s2, s0
	s_cbranch_execz .LBB37_18
; %bb.11:                               ;   in Loop: Header=BB37_10 Depth=2
	v_ashrrev_i32_e32 v10, 31, v9
	v_mov_b32_e32 v27, 0
	v_mov_b32_e32 v2, 0
	;; [unrolled: 1-line block ×3, first 2 shown]
	s_mov_b32 s3, 0
	v_lshlrev_b64 v[12:13], 2, v[9:10]
	v_lshlrev_b64 v[10:11], 3, v[9:10]
                                        ; implicit-def: $sgpr44
	v_add_co_u32 v12, vcc_lo, s12, v12
	v_add_co_ci_u32_e64 v13, null, s13, v13, vcc_lo
	v_add_co_u32 v14, vcc_lo, s14, v10
	v_add_co_ci_u32_e64 v26, null, s15, v11, vcc_lo
	v_mov_b32_e32 v10, 0
	s_branch .LBB37_14
.LBB37_12:                              ;   in Loop: Header=BB37_14 Depth=3
	s_or_b32 exec_lo, exec_lo, s1
	v_cmp_le_i32_e32 vcc_lo, v29, v30
	v_cmp_ge_i32_e64 s1, v29, v30
	v_add_co_ci_u32_e64 v2, null, 0, v2, vcc_lo
	v_add_co_ci_u32_e64 v10, null, 0, v10, s1
	s_andn2_b32 s1, s44, exec_lo
	v_cmp_ge_i32_e32 vcc_lo, v2, v20
	s_and_b32 s44, vcc_lo, exec_lo
	s_or_b32 s44, s1, s44
.LBB37_13:                              ;   in Loop: Header=BB37_14 Depth=3
	s_or_b32 exec_lo, exec_lo, s45
	s_and_b32 s1, exec_lo, s44
	s_or_b32 s3, s1, s3
	s_andn2_b32 exec_lo, exec_lo, s3
	s_cbranch_execz .LBB37_17
.LBB37_14:                              ;   Parent Loop BB37_6 Depth=1
                                        ;     Parent Loop BB37_10 Depth=2
                                        ; =>    This Inner Loop Header: Depth=3
	s_or_b32 s44, s44, exec_lo
	s_mov_b32 s45, exec_lo
	v_cmpx_lt_i32_e64 v10, v25
	s_cbranch_execz .LBB37_13
; %bb.15:                               ;   in Loop: Header=BB37_14 Depth=3
	v_mov_b32_e32 v11, v3
	v_lshlrev_b64 v[29:30], 2, v[2:3]
	s_mov_b32 s1, exec_lo
	v_lshlrev_b64 v[31:32], 2, v[10:11]
	v_add_co_u32 v29, vcc_lo, v21, v29
	v_add_co_ci_u32_e64 v30, null, v22, v30, vcc_lo
	v_add_co_u32 v31, vcc_lo, v12, v31
	v_add_co_ci_u32_e64 v32, null, v13, v32, vcc_lo
	global_load_dword v29, v[29:30], off
	global_load_dword v30, v[31:32], off
	s_waitcnt vmcnt(1)
	v_subrev_nc_u32_e32 v29, s38, v29
	s_waitcnt vmcnt(0)
	v_subrev_nc_u32_e32 v30, s39, v30
	v_cmpx_eq_u32_e64 v29, v30
	s_cbranch_execz .LBB37_12
; %bb.16:                               ;   in Loop: Header=BB37_14 Depth=3
	v_lshlrev_b64 v[31:32], 3, v[2:3]
	v_lshlrev_b64 v[33:34], 3, v[10:11]
	v_add_co_u32 v31, vcc_lo, v23, v31
	v_add_co_ci_u32_e64 v32, null, v24, v32, vcc_lo
	v_add_co_u32 v33, vcc_lo, v14, v33
	v_add_co_ci_u32_e64 v34, null, v26, v34, vcc_lo
	global_load_dwordx2 v[31:32], v[31:32], off
	global_load_dwordx2 v[33:34], v[33:34], off
	s_waitcnt vmcnt(0)
	v_fmac_f32_e32 v27, v31, v33
	v_fmac_f32_e32 v28, v32, v33
	v_fma_f32 v27, -v32, v34, v27
	v_fmac_f32_e32 v28, v31, v34
	s_branch .LBB37_12
.LBB37_17:                              ;   in Loop: Header=BB37_10 Depth=2
	s_or_b32 exec_lo, exec_lo, s3
.LBB37_18:                              ;   in Loop: Header=BB37_10 Depth=2
	s_or_b32 exec_lo, exec_lo, s2
	v_lshlrev_b64 v[11:12], 3, v[4:5]
	v_cmp_le_i32_e64 s2, v1, v7
	s_mov_b32 s1, exec_lo
	v_add_co_u32 v11, vcc_lo, s30, v11
	v_add_co_ci_u32_e64 v12, null, s31, v12, vcc_lo
	global_load_dwordx2 v[11:12], v[11:12], off
	s_waitcnt vmcnt(0)
	v_sub_f32_e32 v26, v11, v27
	v_sub_f32_e32 v5, v12, v28
	v_cmpx_gt_i32_e64 v1, v7
	s_cbranch_execz .LBB37_20
; %bb.19:                               ;   in Loop: Header=BB37_10 Depth=2
	v_lshlrev_b64 v[13:14], 3, v[7:8]
	v_add_co_u32 v13, vcc_lo, s6, v13
	v_add_co_ci_u32_e64 v14, null, s7, v14, vcc_lo
	global_load_dwordx2 v[13:14], v[13:14], off
	s_waitcnt vmcnt(0)
	v_mul_f32_e32 v29, v14, v14
	v_fmac_f32_e32 v29, v13, v13
	v_div_scale_f32 v30, null, v29, v29, 1.0
	v_div_scale_f32 v33, vcc_lo, 1.0, v29, 1.0
	v_rcp_f32_e32 v31, v30
	v_fma_f32 v32, -v30, v31, 1.0
	v_fmac_f32_e32 v31, v32, v31
	v_mul_f32_e32 v32, v33, v31
	v_fma_f32 v34, -v30, v32, v33
	v_fmac_f32_e32 v32, v34, v31
	v_fma_f32 v30, -v30, v32, v33
	v_div_fmas_f32 v30, v30, v31, v32
	v_mul_f32_e32 v31, v5, v14
	v_mul_f32_e64 v14, v14, -v26
	v_div_fixup_f32 v29, v30, v29, 1.0
	v_fmac_f32_e32 v31, v26, v13
	v_fmac_f32_e32 v14, v5, v13
	v_mul_f32_e32 v26, v31, v29
	v_mul_f32_e32 v5, v14, v29
.LBB37_20:                              ;   in Loop: Header=BB37_10 Depth=2
	s_or_b32 exec_lo, exec_lo, s1
	v_cmp_lt_i32_e64 s1, v10, v25
	s_mov_b32 s3, exec_lo
	v_cmpx_ge_i32_e64 v10, v25
	s_xor_b32 s3, exec_lo, s3
	s_cbranch_execnz .LBB37_33
; %bb.21:                               ;   in Loop: Header=BB37_10 Depth=2
	s_andn2_saveexec_b32 s3, s3
	s_cbranch_execnz .LBB37_49
.LBB37_22:                              ;   in Loop: Header=BB37_10 Depth=2
	s_or_b32 exec_lo, exec_lo, s3
	s_mov_b32 s3, exec_lo
	v_cmpx_eq_u32_e64 v1, v7
	s_cbranch_execz .LBB37_24
.LBB37_23:                              ;   in Loop: Header=BB37_10 Depth=2
	v_lshlrev_b64 v[13:14], 3, v[7:8]
	v_add_co_u32 v13, vcc_lo, s6, v13
	v_add_co_ci_u32_e64 v14, null, s7, v14, vcc_lo
	global_load_dwordx2 v[13:14], v[13:14], off
	s_waitcnt vmcnt(0)
	v_add_f32_e32 v27, v27, v13
	v_add_f32_e32 v28, v28, v14
.LBB37_24:                              ;   in Loop: Header=BB37_10 Depth=2
	s_or_b32 exec_lo, exec_lo, s3
	v_sub_f32_e32 v11, v11, v27
	v_sub_f32_e32 v14, v12, v28
                                        ; implicit-def: $vgpr13
	s_mov_b32 s3, exec_lo
	v_cmp_gt_f32_e32 vcc_lo, 0, v11
	v_cndmask_b32_e64 v11, v11, -v11, vcc_lo
	v_cmp_gt_f32_e32 vcc_lo, 0, v14
	v_cndmask_b32_e64 v12, v14, -v14, vcc_lo
	v_cmpx_ngt_f32_e32 v11, v12
	s_xor_b32 s44, exec_lo, s3
	s_cbranch_execz .LBB37_28
; %bb.25:                               ;   in Loop: Header=BB37_10 Depth=2
	v_mov_b32_e32 v13, 0
	s_mov_b32 s45, exec_lo
	v_cmpx_neq_f32_e32 0, v14
	s_cbranch_execz .LBB37_27
; %bb.26:                               ;   in Loop: Header=BB37_10 Depth=2
	v_div_scale_f32 v13, null, v12, v12, v11
	v_div_scale_f32 v28, vcc_lo, v11, v12, v11
	v_rcp_f32_e32 v14, v13
	v_fma_f32 v27, -v13, v14, 1.0
	v_fmac_f32_e32 v14, v27, v14
	v_mul_f32_e32 v27, v28, v14
	v_fma_f32 v29, -v13, v27, v28
	v_fmac_f32_e32 v27, v29, v14
	v_fma_f32 v13, -v13, v27, v28
	v_div_fmas_f32 v13, v13, v14, v27
	v_div_fixup_f32 v11, v13, v12, v11
	v_fma_f32 v11, v11, v11, 1.0
	v_mul_f32_e32 v13, 0x4f800000, v11
	v_cmp_gt_f32_e32 vcc_lo, 0xf800000, v11
	v_cndmask_b32_e32 v11, v11, v13, vcc_lo
	v_sqrt_f32_e32 v13, v11
	v_add_nc_u32_e32 v14, -1, v13
	v_add_nc_u32_e32 v27, 1, v13
	v_fma_f32 v28, -v14, v13, v11
	v_fma_f32 v29, -v27, v13, v11
	v_cmp_ge_f32_e64 s3, 0, v28
	v_cndmask_b32_e64 v13, v13, v14, s3
	v_cmp_lt_f32_e64 s3, 0, v29
	v_cndmask_b32_e64 v13, v13, v27, s3
	v_mul_f32_e32 v14, 0x37800000, v13
	v_cndmask_b32_e32 v13, v13, v14, vcc_lo
	v_cmp_class_f32_e64 vcc_lo, v11, 0x260
	v_cndmask_b32_e32 v11, v13, v11, vcc_lo
	v_mul_f32_e32 v13, v12, v11
.LBB37_27:                              ;   in Loop: Header=BB37_10 Depth=2
	s_or_b32 exec_lo, exec_lo, s45
                                        ; implicit-def: $vgpr11
                                        ; implicit-def: $vgpr12
.LBB37_28:                              ;   in Loop: Header=BB37_10 Depth=2
	s_andn2_saveexec_b32 s44, s44
	s_cbranch_execz .LBB37_30
; %bb.29:                               ;   in Loop: Header=BB37_10 Depth=2
	v_div_scale_f32 v13, null, v11, v11, v12
	v_div_scale_f32 v28, vcc_lo, v12, v11, v12
	v_rcp_f32_e32 v14, v13
	v_fma_f32 v27, -v13, v14, 1.0
	v_fmac_f32_e32 v14, v27, v14
	v_mul_f32_e32 v27, v28, v14
	v_fma_f32 v29, -v13, v27, v28
	v_fmac_f32_e32 v27, v29, v14
	v_fma_f32 v13, -v13, v27, v28
	v_div_fmas_f32 v13, v13, v14, v27
	v_div_fixup_f32 v12, v13, v11, v12
	v_fma_f32 v12, v12, v12, 1.0
	v_mul_f32_e32 v13, 0x4f800000, v12
	v_cmp_gt_f32_e32 vcc_lo, 0xf800000, v12
	v_cndmask_b32_e32 v12, v12, v13, vcc_lo
	v_sqrt_f32_e32 v13, v12
	v_add_nc_u32_e32 v14, -1, v13
	v_add_nc_u32_e32 v27, 1, v13
	v_fma_f32 v28, -v14, v13, v12
	v_fma_f32 v29, -v27, v13, v12
	v_cmp_ge_f32_e64 s3, 0, v28
	v_cndmask_b32_e64 v13, v13, v14, s3
	v_cmp_lt_f32_e64 s3, 0, v29
	v_cndmask_b32_e64 v13, v13, v27, s3
	v_mul_f32_e32 v14, 0x37800000, v13
	v_cndmask_b32_e32 v13, v13, v14, vcc_lo
	v_cmp_class_f32_e64 vcc_lo, v12, 0x260
	v_cndmask_b32_e32 v12, v13, v12, vcc_lo
	v_mul_f32_e32 v13, v11, v12
.LBB37_30:                              ;   in Loop: Header=BB37_10 Depth=2
	s_or_b32 exec_lo, exec_lo, s44
	v_cmp_gt_f32_e32 vcc_lo, 0, v26
                                        ; implicit-def: $vgpr14
	s_mov_b32 s3, exec_lo
	v_cndmask_b32_e64 v11, v26, -v26, vcc_lo
	v_cmp_gt_f32_e32 vcc_lo, 0, v5
	v_cndmask_b32_e64 v12, v5, -v5, vcc_lo
	v_cmpx_ngt_f32_e32 v11, v12
	s_xor_b32 s44, exec_lo, s3
	s_cbranch_execnz .LBB37_38
; %bb.31:                               ;   in Loop: Header=BB37_10 Depth=2
	s_andn2_saveexec_b32 s44, s44
	s_cbranch_execnz .LBB37_41
.LBB37_32:                              ;   in Loop: Header=BB37_10 Depth=2
	s_or_b32 exec_lo, exec_lo, s44
	v_cmp_class_f32_e64 s44, v14, 0x1f8
	s_and_saveexec_b32 s3, s44
	s_cbranch_execz .LBB37_9
	s_branch .LBB37_42
.LBB37_33:                              ;   in Loop: Header=BB37_10 Depth=2
	s_mov_b32 s44, exec_lo
	v_cmpx_lt_i32_e64 v2, v20
	s_cbranch_execz .LBB37_48
; %bb.34:                               ;   in Loop: Header=BB37_10 Depth=2
	v_mov_b32_e32 v29, v2
	s_mov_b32 s46, 0
                                        ; implicit-def: $sgpr45
                                        ; implicit-def: $sgpr48
                                        ; implicit-def: $sgpr47
	s_inst_prefetch 0x1
	s_branch .LBB37_36
	.p2align	6
.LBB37_35:                              ;   in Loop: Header=BB37_36 Depth=3
	s_or_b32 exec_lo, exec_lo, s49
	s_and_b32 s49, exec_lo, s48
	s_or_b32 s46, s49, s46
	s_andn2_b32 s45, s45, exec_lo
	s_and_b32 s49, s47, exec_lo
	s_or_b32 s45, s45, s49
	s_andn2_b32 exec_lo, exec_lo, s46
	s_cbranch_execz .LBB37_45
.LBB37_36:                              ;   Parent Loop BB37_6 Depth=1
                                        ;     Parent Loop BB37_10 Depth=2
                                        ; =>    This Inner Loop Header: Depth=3
	v_add_nc_u32_e32 v13, v6, v29
	s_or_b32 s47, s47, exec_lo
	s_or_b32 s48, s48, exec_lo
	s_mov_b32 s49, exec_lo
	v_ashrrev_i32_e32 v14, 31, v13
	v_lshlrev_b64 v[30:31], 2, v[13:14]
	v_add_co_u32 v30, vcc_lo, s20, v30
	v_add_co_ci_u32_e64 v31, null, s21, v31, vcc_lo
	global_load_dword v30, v[30:31], off
	s_waitcnt vmcnt(0)
	v_subrev_nc_u32_e32 v30, s38, v30
	v_cmpx_ne_u32_e64 v30, v7
	s_cbranch_execz .LBB37_35
; %bb.37:                               ;   in Loop: Header=BB37_36 Depth=3
	v_add_nc_u32_e32 v29, 1, v29
	s_andn2_b32 s48, s48, exec_lo
	s_andn2_b32 s47, s47, exec_lo
	v_cmp_ge_i32_e32 vcc_lo, v29, v20
	s_and_b32 s50, vcc_lo, exec_lo
	s_or_b32 s48, s48, s50
	s_branch .LBB37_35
.LBB37_38:                              ;   in Loop: Header=BB37_10 Depth=2
	v_mov_b32_e32 v14, 0
	s_mov_b32 s45, exec_lo
	v_cmpx_neq_f32_e32 0, v5
	s_cbranch_execz .LBB37_40
; %bb.39:                               ;   in Loop: Header=BB37_10 Depth=2
	v_div_scale_f32 v14, null, v12, v12, v11
	v_div_scale_f32 v29, vcc_lo, v11, v12, v11
	v_rcp_f32_e32 v27, v14
	v_fma_f32 v28, -v14, v27, 1.0
	v_fmac_f32_e32 v27, v28, v27
	v_mul_f32_e32 v28, v29, v27
	v_fma_f32 v30, -v14, v28, v29
	v_fmac_f32_e32 v28, v30, v27
	v_fma_f32 v14, -v14, v28, v29
	v_div_fmas_f32 v14, v14, v27, v28
	v_div_fixup_f32 v11, v14, v12, v11
	v_fma_f32 v11, v11, v11, 1.0
	v_mul_f32_e32 v14, 0x4f800000, v11
	v_cmp_gt_f32_e32 vcc_lo, 0xf800000, v11
	v_cndmask_b32_e32 v11, v11, v14, vcc_lo
	v_sqrt_f32_e32 v14, v11
	v_add_nc_u32_e32 v27, -1, v14
	v_add_nc_u32_e32 v28, 1, v14
	v_fma_f32 v29, -v27, v14, v11
	v_fma_f32 v30, -v28, v14, v11
	v_cmp_ge_f32_e64 s3, 0, v29
	v_cndmask_b32_e64 v14, v14, v27, s3
	v_cmp_lt_f32_e64 s3, 0, v30
	v_cndmask_b32_e64 v14, v14, v28, s3
	v_mul_f32_e32 v27, 0x37800000, v14
	v_cndmask_b32_e32 v14, v14, v27, vcc_lo
	v_cmp_class_f32_e64 vcc_lo, v11, 0x260
	v_cndmask_b32_e32 v11, v14, v11, vcc_lo
	v_mul_f32_e32 v14, v12, v11
.LBB37_40:                              ;   in Loop: Header=BB37_10 Depth=2
	s_or_b32 exec_lo, exec_lo, s45
                                        ; implicit-def: $vgpr11
                                        ; implicit-def: $vgpr12
	s_andn2_saveexec_b32 s44, s44
	s_cbranch_execz .LBB37_32
.LBB37_41:                              ;   in Loop: Header=BB37_10 Depth=2
	v_div_scale_f32 v14, null, v11, v11, v12
	v_div_scale_f32 v29, vcc_lo, v12, v11, v12
	v_rcp_f32_e32 v27, v14
	v_fma_f32 v28, -v14, v27, 1.0
	v_fmac_f32_e32 v27, v28, v27
	v_mul_f32_e32 v28, v29, v27
	v_fma_f32 v30, -v14, v28, v29
	v_fmac_f32_e32 v28, v30, v27
	v_fma_f32 v14, -v14, v28, v29
	v_div_fmas_f32 v14, v14, v27, v28
	v_div_fixup_f32 v12, v14, v11, v12
	v_fma_f32 v12, v12, v12, 1.0
	v_mul_f32_e32 v14, 0x4f800000, v12
	v_cmp_gt_f32_e32 vcc_lo, 0xf800000, v12
	v_cndmask_b32_e32 v12, v12, v14, vcc_lo
	v_sqrt_f32_e32 v14, v12
	v_add_nc_u32_e32 v27, -1, v14
	v_add_nc_u32_e32 v28, 1, v14
	v_fma_f32 v29, -v27, v14, v12
	v_fma_f32 v30, -v28, v14, v12
	v_cmp_ge_f32_e64 s3, 0, v29
	v_cndmask_b32_e64 v14, v14, v27, s3
	v_cmp_lt_f32_e64 s3, 0, v30
	v_cndmask_b32_e64 v14, v14, v28, s3
	v_mul_f32_e32 v27, 0x37800000, v14
	v_cndmask_b32_e32 v14, v14, v27, vcc_lo
	v_cmp_class_f32_e64 vcc_lo, v12, 0x260
	v_cndmask_b32_e32 v12, v14, v12, vcc_lo
	v_mul_f32_e32 v14, v11, v12
	s_or_b32 exec_lo, exec_lo, s44
	v_cmp_class_f32_e64 s44, v14, 0x1f8
	s_and_saveexec_b32 s3, s44
	s_cbranch_execz .LBB37_9
.LBB37_42:                              ;   in Loop: Header=BB37_10 Depth=2
	s_mov_b32 s44, 0
                                        ; implicit-def: $vgpr11_vgpr12
	s_and_saveexec_b32 s45, s2
	s_xor_b32 s2, exec_lo, s45
	s_cbranch_execnz .LBB37_56
; %bb.43:                               ;   in Loop: Header=BB37_10 Depth=2
	s_andn2_saveexec_b32 s1, s2
	s_cbranch_execnz .LBB37_69
.LBB37_44:                              ;   in Loop: Header=BB37_10 Depth=2
	s_or_b32 exec_lo, exec_lo, s1
	s_and_b32 exec_lo, exec_lo, s44
	s_cbranch_execz .LBB37_9
	s_branch .LBB37_78
.LBB37_45:                              ;   in Loop: Header=BB37_10 Depth=2
	s_inst_prefetch 0x2
	s_or_b32 exec_lo, exec_lo, s46
	s_and_saveexec_b32 s46, s45
	s_xor_b32 s45, exec_lo, s46
	s_cbranch_execz .LBB37_47
; %bb.46:                               ;   in Loop: Header=BB37_10 Depth=2
	v_lshlrev_b64 v[13:14], 3, v[13:14]
	v_lshlrev_b64 v[29:30], 3, v[7:8]
	v_add_co_u32 v13, vcc_lo, s22, v13
	v_add_co_ci_u32_e64 v14, null, s23, v14, vcc_lo
	v_add_co_u32 v29, vcc_lo, s6, v29
	v_add_co_ci_u32_e64 v30, null, s7, v30, vcc_lo
	global_load_dwordx2 v[13:14], v[13:14], off
	global_load_dwordx2 v[29:30], v[29:30], off
	s_waitcnt vmcnt(0)
	v_mul_f32_e64 v31, v30, -v14
	v_mul_f32_e32 v30, v30, v13
	v_fmac_f32_e32 v31, v13, v29
	v_fmac_f32_e32 v30, v14, v29
	v_add_f32_e32 v27, v27, v31
	v_add_f32_e32 v28, v28, v30
.LBB37_47:                              ;   in Loop: Header=BB37_10 Depth=2
	s_or_b32 exec_lo, exec_lo, s45
.LBB37_48:                              ;   in Loop: Header=BB37_10 Depth=2
	s_or_b32 exec_lo, exec_lo, s44
	s_andn2_saveexec_b32 s3, s3
	s_cbranch_execz .LBB37_22
.LBB37_49:                              ;   in Loop: Header=BB37_10 Depth=2
	v_mov_b32_e32 v29, v10
	s_mov_b32 s45, 0
                                        ; implicit-def: $sgpr44
                                        ; implicit-def: $sgpr47
                                        ; implicit-def: $sgpr46
	s_inst_prefetch 0x1
	s_branch .LBB37_51
	.p2align	6
.LBB37_50:                              ;   in Loop: Header=BB37_51 Depth=3
	s_or_b32 exec_lo, exec_lo, s48
	s_and_b32 s48, exec_lo, s47
	s_or_b32 s45, s48, s45
	s_andn2_b32 s44, s44, exec_lo
	s_and_b32 s48, s46, exec_lo
	s_or_b32 s44, s44, s48
	s_andn2_b32 exec_lo, exec_lo, s45
	s_cbranch_execz .LBB37_53
.LBB37_51:                              ;   Parent Loop BB37_6 Depth=1
                                        ;     Parent Loop BB37_10 Depth=2
                                        ; =>    This Inner Loop Header: Depth=3
	v_add_nc_u32_e32 v13, v9, v29
	s_or_b32 s46, s46, exec_lo
	s_or_b32 s47, s47, exec_lo
	s_mov_b32 s48, exec_lo
	v_ashrrev_i32_e32 v14, 31, v13
	v_lshlrev_b64 v[30:31], 2, v[13:14]
	v_add_co_u32 v30, vcc_lo, s12, v30
	v_add_co_ci_u32_e64 v31, null, s13, v31, vcc_lo
	global_load_dword v30, v[30:31], off
	s_waitcnt vmcnt(0)
	v_subrev_nc_u32_e32 v30, s39, v30
	v_cmpx_ne_u32_e64 v30, v1
	s_cbranch_execz .LBB37_50
; %bb.52:                               ;   in Loop: Header=BB37_51 Depth=3
	v_add_nc_u32_e32 v29, 1, v29
	s_andn2_b32 s47, s47, exec_lo
	s_andn2_b32 s46, s46, exec_lo
	v_cmp_ge_i32_e32 vcc_lo, v29, v25
	s_and_b32 s49, vcc_lo, exec_lo
	s_or_b32 s47, s47, s49
	s_branch .LBB37_50
.LBB37_53:                              ;   in Loop: Header=BB37_10 Depth=2
	s_inst_prefetch 0x2
	s_or_b32 exec_lo, exec_lo, s45
	s_and_saveexec_b32 s45, s44
	s_xor_b32 s44, exec_lo, s45
	s_cbranch_execz .LBB37_55
; %bb.54:                               ;   in Loop: Header=BB37_10 Depth=2
	v_lshlrev_b64 v[13:14], 3, v[13:14]
	v_add_co_u32 v13, vcc_lo, s14, v13
	v_add_co_ci_u32_e64 v14, null, s15, v14, vcc_lo
	global_load_dwordx2 v[13:14], v[13:14], off
	s_waitcnt vmcnt(0)
	v_add_f32_e32 v27, v27, v13
	v_add_f32_e32 v28, v28, v14
.LBB37_55:                              ;   in Loop: Header=BB37_10 Depth=2
	s_or_b32 exec_lo, exec_lo, s44
	s_or_b32 exec_lo, exec_lo, s3
	s_mov_b32 s3, exec_lo
	v_cmpx_eq_u32_e64 v1, v7
	s_cbranch_execnz .LBB37_23
	s_branch .LBB37_24
.LBB37_56:                              ;   in Loop: Header=BB37_10 Depth=2
	s_mov_b32 s45, exec_lo
                                        ; implicit-def: $vgpr11_vgpr12
	v_cmpx_ge_i32_e64 v1, v7
	s_xor_b32 s45, exec_lo, s45
	s_cbranch_execz .LBB37_58
; %bb.57:                               ;   in Loop: Header=BB37_10 Depth=2
	v_lshlrev_b64 v[7:8], 3, v[7:8]
	s_mov_b32 s44, exec_lo
                                        ; implicit-def: $vgpr10
                                        ; implicit-def: $vgpr9
                                        ; implicit-def: $vgpr25
	v_add_co_u32 v11, vcc_lo, s6, v7
	v_add_co_ci_u32_e64 v12, null, s7, v8, vcc_lo
	global_store_dword v[11:12], v26, off
                                        ; implicit-def: $vgpr26
.LBB37_58:                              ;   in Loop: Header=BB37_10 Depth=2
	s_andn2_saveexec_b32 s45, s45
	s_cbranch_execz .LBB37_68
; %bb.59:                               ;   in Loop: Header=BB37_10 Depth=2
	s_mov_b32 s47, s44
                                        ; implicit-def: $vgpr11_vgpr12
	s_and_saveexec_b32 s46, s1
	s_cbranch_execz .LBB37_67
; %bb.60:                               ;   in Loop: Header=BB37_10 Depth=2
	s_mov_b32 s47, 0
                                        ; implicit-def: $sgpr1
                                        ; implicit-def: $sgpr49
                                        ; implicit-def: $sgpr48
	s_inst_prefetch 0x1
	s_branch .LBB37_62
	.p2align	6
.LBB37_61:                              ;   in Loop: Header=BB37_62 Depth=3
	s_or_b32 exec_lo, exec_lo, s50
	s_and_b32 s50, exec_lo, s49
	s_or_b32 s47, s50, s47
	s_andn2_b32 s1, s1, exec_lo
	s_and_b32 s50, s48, exec_lo
	s_or_b32 s1, s1, s50
	s_andn2_b32 exec_lo, exec_lo, s47
	s_cbranch_execz .LBB37_64
.LBB37_62:                              ;   Parent Loop BB37_6 Depth=1
                                        ;     Parent Loop BB37_10 Depth=2
                                        ; =>    This Inner Loop Header: Depth=3
	v_add_nc_u32_e32 v7, v9, v10
	s_or_b32 s48, s48, exec_lo
	s_or_b32 s49, s49, exec_lo
	s_mov_b32 s50, exec_lo
	v_ashrrev_i32_e32 v8, 31, v7
	v_lshlrev_b64 v[11:12], 2, v[7:8]
	v_add_co_u32 v11, vcc_lo, s12, v11
	v_add_co_ci_u32_e64 v12, null, s13, v12, vcc_lo
	global_load_dword v2, v[11:12], off
	s_waitcnt vmcnt(0)
	v_subrev_nc_u32_e32 v2, s39, v2
	v_cmpx_ne_u32_e64 v2, v1
	s_cbranch_execz .LBB37_61
; %bb.63:                               ;   in Loop: Header=BB37_62 Depth=3
	v_add_nc_u32_e32 v10, 1, v10
	s_andn2_b32 s49, s49, exec_lo
	s_andn2_b32 s48, s48, exec_lo
	v_cmp_ge_i32_e32 vcc_lo, v10, v25
	s_and_b32 s51, vcc_lo, exec_lo
	s_or_b32 s49, s49, s51
	s_branch .LBB37_61
.LBB37_64:                              ;   in Loop: Header=BB37_10 Depth=2
	s_inst_prefetch 0x2
	s_or_b32 exec_lo, exec_lo, s47
	s_mov_b32 s47, s44
                                        ; implicit-def: $vgpr11_vgpr12
	s_and_saveexec_b32 s48, s1
	s_xor_b32 s1, exec_lo, s48
	s_cbranch_execz .LBB37_66
; %bb.65:                               ;   in Loop: Header=BB37_10 Depth=2
	v_lshlrev_b64 v[7:8], 3, v[7:8]
	s_or_b32 s47, s44, exec_lo
	v_add_co_u32 v11, vcc_lo, s14, v7
	v_add_co_ci_u32_e64 v12, null, s15, v8, vcc_lo
	global_store_dword v[11:12], v26, off
.LBB37_66:                              ;   in Loop: Header=BB37_10 Depth=2
	s_or_b32 exec_lo, exec_lo, s1
	s_andn2_b32 s1, s44, exec_lo
	s_and_b32 s47, s47, exec_lo
	s_or_b32 s47, s1, s47
.LBB37_67:                              ;   in Loop: Header=BB37_10 Depth=2
	s_or_b32 exec_lo, exec_lo, s46
	s_andn2_b32 s1, s44, exec_lo
	s_and_b32 s44, s47, exec_lo
	s_or_b32 s44, s1, s44
.LBB37_68:                              ;   in Loop: Header=BB37_10 Depth=2
	s_or_b32 exec_lo, exec_lo, s45
	s_and_b32 s44, s44, exec_lo
                                        ; implicit-def: $vgpr26
                                        ; implicit-def: $vgpr7_vgpr8
	s_andn2_saveexec_b32 s1, s2
	s_cbranch_execz .LBB37_44
.LBB37_69:                              ;   in Loop: Header=BB37_10 Depth=2
	s_mov_b32 s45, s44
	s_mov_b32 s2, exec_lo
                                        ; implicit-def: $vgpr11_vgpr12
	v_cmpx_lt_i32_e64 v2, v20
	s_cbranch_execz .LBB37_77
; %bb.70:                               ;   in Loop: Header=BB37_10 Depth=2
	s_mov_b32 s46, 0
                                        ; implicit-def: $sgpr45
                                        ; implicit-def: $sgpr48
                                        ; implicit-def: $sgpr47
	s_inst_prefetch 0x1
	s_branch .LBB37_72
	.p2align	6
.LBB37_71:                              ;   in Loop: Header=BB37_72 Depth=3
	s_or_b32 exec_lo, exec_lo, s49
	s_and_b32 s49, exec_lo, s48
	s_or_b32 s46, s49, s46
	s_andn2_b32 s45, s45, exec_lo
	s_and_b32 s49, s47, exec_lo
	s_or_b32 s45, s45, s49
	s_andn2_b32 exec_lo, exec_lo, s46
	s_cbranch_execz .LBB37_74
.LBB37_72:                              ;   Parent Loop BB37_6 Depth=1
                                        ;     Parent Loop BB37_10 Depth=2
                                        ; =>    This Inner Loop Header: Depth=3
	v_add_nc_u32_e32 v8, v6, v2
	s_or_b32 s47, s47, exec_lo
	s_or_b32 s48, s48, exec_lo
	s_mov_b32 s49, exec_lo
	v_ashrrev_i32_e32 v9, 31, v8
	v_lshlrev_b64 v[10:11], 2, v[8:9]
	v_add_co_u32 v10, vcc_lo, s20, v10
	v_add_co_ci_u32_e64 v11, null, s21, v11, vcc_lo
	global_load_dword v10, v[10:11], off
	s_waitcnt vmcnt(0)
	v_subrev_nc_u32_e32 v10, s38, v10
	v_cmpx_ne_u32_e64 v10, v7
	s_cbranch_execz .LBB37_71
; %bb.73:                               ;   in Loop: Header=BB37_72 Depth=3
	v_add_nc_u32_e32 v2, 1, v2
	s_andn2_b32 s48, s48, exec_lo
	s_andn2_b32 s47, s47, exec_lo
	v_cmp_ge_i32_e32 vcc_lo, v2, v20
	s_and_b32 s50, vcc_lo, exec_lo
	s_or_b32 s48, s48, s50
	s_branch .LBB37_71
.LBB37_74:                              ;   in Loop: Header=BB37_10 Depth=2
	s_inst_prefetch 0x2
	s_or_b32 exec_lo, exec_lo, s46
	s_mov_b32 s46, s44
                                        ; implicit-def: $vgpr11_vgpr12
	s_and_saveexec_b32 s47, s45
	s_xor_b32 s45, exec_lo, s47
	s_cbranch_execz .LBB37_76
; %bb.75:                               ;   in Loop: Header=BB37_10 Depth=2
	v_lshlrev_b64 v[7:8], 3, v[8:9]
	s_or_b32 s46, s44, exec_lo
	v_add_co_u32 v11, vcc_lo, s22, v7
	v_add_co_ci_u32_e64 v12, null, s23, v8, vcc_lo
	global_store_dword v[11:12], v26, off
.LBB37_76:                              ;   in Loop: Header=BB37_10 Depth=2
	s_or_b32 exec_lo, exec_lo, s45
	s_andn2_b32 s45, s44, exec_lo
	s_and_b32 s46, s46, exec_lo
	s_or_b32 s45, s45, s46
.LBB37_77:                              ;   in Loop: Header=BB37_10 Depth=2
	s_or_b32 exec_lo, exec_lo, s2
	s_andn2_b32 s2, s44, exec_lo
	s_and_b32 s44, s45, exec_lo
	s_or_b32 s44, s2, s44
	s_or_b32 exec_lo, exec_lo, s1
	s_and_b32 exec_lo, exec_lo, s44
	s_cbranch_execz .LBB37_9
.LBB37_78:                              ;   in Loop: Header=BB37_10 Depth=2
	global_store_dword v[11:12], v5, off offset:4
	s_branch .LBB37_9
.LBB37_79:
	s_or_b32 exec_lo, exec_lo, s40
.LBB37_80:
	s_or_b32 exec_lo, exec_lo, s35
.LBB37_81:
	s_or_b32 exec_lo, exec_lo, s33
	v_mbcnt_lo_u32_b32 v1, -1, 0
	s_mov_b32 s0, exec_lo
	v_xor_b32_e32 v2, 2, v1
	v_xor_b32_e32 v3, 1, v1
	v_cmp_gt_i32_e32 vcc_lo, 32, v2
	v_cndmask_b32_e32 v2, v1, v2, vcc_lo
	v_cmp_gt_i32_e32 vcc_lo, 32, v3
	v_lshlrev_b32_e32 v2, 2, v2
	v_cndmask_b32_e32 v3, v1, v3, vcc_lo
	ds_bpermute_b32 v2, v2, v17
	s_waitcnt lgkmcnt(0)
	v_cmp_lt_f32_e32 vcc_lo, v17, v2
	v_cndmask_b32_e32 v1, v17, v2, vcc_lo
	v_lshlrev_b32_e32 v2, 2, v3
	ds_bpermute_b32 v2, v2, v1
	v_cmpx_eq_u32_e32 3, v16
	s_cbranch_execz .LBB37_83
; %bb.82:
	s_waitcnt lgkmcnt(0)
	v_cmp_lt_f32_e32 vcc_lo, v1, v2
	v_lshlrev_b32_e32 v3, 2, v15
	v_cndmask_b32_e32 v1, v1, v2, vcc_lo
	ds_write_b32 v3, v1
.LBB37_83:
	s_or_b32 exec_lo, exec_lo, s0
	v_lshlrev_b32_e32 v1, 2, v0
	s_mov_b32 s0, exec_lo
	s_waitcnt lgkmcnt(0)
	s_waitcnt_vscnt null, 0x0
	s_barrier
	buffer_gl0_inv
	v_cmpx_gt_u32_e32 0x80, v0
	s_cbranch_execz .LBB37_85
; %bb.84:
	ds_read2st64_b32 v[2:3], v1 offset1:2
	s_waitcnt lgkmcnt(0)
	v_cmp_lt_f32_e32 vcc_lo, v2, v3
	v_cndmask_b32_e32 v2, v2, v3, vcc_lo
	ds_write_b32 v1, v2
.LBB37_85:
	s_or_b32 exec_lo, exec_lo, s0
	s_mov_b32 s0, exec_lo
	s_waitcnt lgkmcnt(0)
	s_barrier
	buffer_gl0_inv
	v_cmpx_gt_u32_e32 64, v0
	s_cbranch_execz .LBB37_87
; %bb.86:
	ds_read2st64_b32 v[2:3], v1 offset1:1
	s_waitcnt lgkmcnt(0)
	v_cmp_lt_f32_e32 vcc_lo, v2, v3
	v_cndmask_b32_e32 v2, v2, v3, vcc_lo
	ds_write_b32 v1, v2
.LBB37_87:
	s_or_b32 exec_lo, exec_lo, s0
	s_mov_b32 s0, exec_lo
	s_waitcnt lgkmcnt(0)
	s_barrier
	buffer_gl0_inv
	v_cmpx_gt_u32_e32 32, v0
	s_cbranch_execz .LBB37_89
; %bb.88:
	ds_read2_b32 v[2:3], v1 offset1:32
	s_waitcnt lgkmcnt(0)
	v_cmp_lt_f32_e32 vcc_lo, v2, v3
	v_cndmask_b32_e32 v2, v2, v3, vcc_lo
	ds_write_b32 v1, v2
.LBB37_89:
	s_or_b32 exec_lo, exec_lo, s0
	s_mov_b32 s0, exec_lo
	s_waitcnt lgkmcnt(0)
	s_barrier
	buffer_gl0_inv
	v_cmpx_gt_u32_e32 16, v0
	s_cbranch_execz .LBB37_91
; %bb.90:
	ds_read2_b32 v[2:3], v1 offset1:16
	s_waitcnt lgkmcnt(0)
	v_cmp_lt_f32_e32 vcc_lo, v2, v3
	v_cndmask_b32_e32 v2, v2, v3, vcc_lo
	ds_write_b32 v1, v2
.LBB37_91:
	;; [unrolled: 14-line block ×5, first 2 shown]
	s_or_b32 exec_lo, exec_lo, s0
	v_cmp_eq_u32_e32 vcc_lo, 0, v0
	s_waitcnt lgkmcnt(0)
	s_barrier
	buffer_gl0_inv
	s_and_saveexec_b32 s1, vcc_lo
	s_cbranch_execz .LBB37_99
; %bb.98:
	v_mov_b32_e32 v2, 0
	ds_read_b64 v[0:1], v2
	s_waitcnt lgkmcnt(0)
	v_cmp_lt_f32_e64 s0, v0, v1
	v_cndmask_b32_e64 v0, v0, v1, s0
	ds_write_b32 v2, v0
.LBB37_99:
	s_or_b32 exec_lo, exec_lo, s1
	s_waitcnt lgkmcnt(0)
	s_barrier
	buffer_gl0_inv
	s_and_saveexec_b32 s0, vcc_lo
	s_cbranch_execz .LBB37_103
; %bb.100:
	v_mbcnt_lo_u32_b32 v0, exec_lo, 0
	s_mov_b32 s6, 0
	v_cmp_eq_u32_e32 vcc_lo, 0, v0
	s_and_b32 exec_lo, exec_lo, vcc_lo
	s_cbranch_execz .LBB37_103
; %bb.101:
	s_load_dwordx4 s[0:3], s[4:5], 0x88
	v_mov_b32_e32 v2, 0
	s_waitcnt lgkmcnt(0)
	s_clause 0x1
	global_load_dword v0, v2, s[2:3]
	global_load_dword v1, v2, s[0:1]
	ds_read_b32 v3, v2
	s_waitcnt vmcnt(1) lgkmcnt(0)
	v_div_scale_f32 v4, null, v0, v0, v3
	v_rcp_f32_e32 v5, v4
	v_fma_f32 v6, -v4, v5, 1.0
	v_fmac_f32_e32 v5, v6, v5
	v_div_scale_f32 v6, vcc_lo, v3, v0, v3
	v_mul_f32_e32 v7, v6, v5
	v_fma_f32 v8, -v4, v7, v6
	v_fmac_f32_e32 v7, v8, v5
	v_fma_f32 v4, -v4, v7, v6
	v_div_fmas_f32 v4, v4, v5, v7
	v_div_fixup_f32 v0, v4, v0, v3
	v_max_f32_e32 v3, v0, v0
.LBB37_102:                             ; =>This Inner Loop Header: Depth=1
	s_waitcnt vmcnt(0)
	v_max_f32_e32 v0, v1, v1
	v_max_f32_e32 v0, v0, v3
	global_atomic_cmpswap v0, v2, v[0:1], s[0:1] glc
	s_waitcnt vmcnt(0)
	v_cmp_eq_u32_e32 vcc_lo, v0, v1
	v_mov_b32_e32 v1, v0
	s_or_b32 s6, vcc_lo, s6
	s_andn2_b32 exec_lo, exec_lo, s6
	s_cbranch_execnz .LBB37_102
.LBB37_103:
	s_endpgm
	.section	.rodata,"a",@progbits
	.p2align	6, 0x0
	.amdhsa_kernel _ZN9rocsparseL17kernel_correctionILi1024ELi4E21rocsparse_complex_numIfEiiEEvT3_T2_PKS4_S6_PKS3_PKT1_21rocsparse_index_base_S6_S6_S8_PS9_SC_S6_S6_S8_SD_SC_SD_PNS_15floating_traitsIS9_E6data_tEPKSG_
		.amdhsa_group_segment_fixed_size 1024
		.amdhsa_private_segment_fixed_size 0
		.amdhsa_kernarg_size 152
		.amdhsa_user_sgpr_count 6
		.amdhsa_user_sgpr_private_segment_buffer 1
		.amdhsa_user_sgpr_dispatch_ptr 0
		.amdhsa_user_sgpr_queue_ptr 0
		.amdhsa_user_sgpr_kernarg_segment_ptr 1
		.amdhsa_user_sgpr_dispatch_id 0
		.amdhsa_user_sgpr_flat_scratch_init 0
		.amdhsa_user_sgpr_private_segment_size 0
		.amdhsa_wavefront_size32 1
		.amdhsa_uses_dynamic_stack 0
		.amdhsa_system_sgpr_private_segment_wavefront_offset 0
		.amdhsa_system_sgpr_workgroup_id_x 1
		.amdhsa_system_sgpr_workgroup_id_y 0
		.amdhsa_system_sgpr_workgroup_id_z 0
		.amdhsa_system_sgpr_workgroup_info 0
		.amdhsa_system_vgpr_workitem_id 0
		.amdhsa_next_free_vgpr 35
		.amdhsa_next_free_sgpr 52
		.amdhsa_reserve_vcc 1
		.amdhsa_reserve_flat_scratch 0
		.amdhsa_float_round_mode_32 0
		.amdhsa_float_round_mode_16_64 0
		.amdhsa_float_denorm_mode_32 3
		.amdhsa_float_denorm_mode_16_64 3
		.amdhsa_dx10_clamp 1
		.amdhsa_ieee_mode 1
		.amdhsa_fp16_overflow 0
		.amdhsa_workgroup_processor_mode 1
		.amdhsa_memory_ordered 1
		.amdhsa_forward_progress 1
		.amdhsa_shared_vgpr_count 0
		.amdhsa_exception_fp_ieee_invalid_op 0
		.amdhsa_exception_fp_denorm_src 0
		.amdhsa_exception_fp_ieee_div_zero 0
		.amdhsa_exception_fp_ieee_overflow 0
		.amdhsa_exception_fp_ieee_underflow 0
		.amdhsa_exception_fp_ieee_inexact 0
		.amdhsa_exception_int_div_zero 0
	.end_amdhsa_kernel
	.section	.text._ZN9rocsparseL17kernel_correctionILi1024ELi4E21rocsparse_complex_numIfEiiEEvT3_T2_PKS4_S6_PKS3_PKT1_21rocsparse_index_base_S6_S6_S8_PS9_SC_S6_S6_S8_SD_SC_SD_PNS_15floating_traitsIS9_E6data_tEPKSG_,"axG",@progbits,_ZN9rocsparseL17kernel_correctionILi1024ELi4E21rocsparse_complex_numIfEiiEEvT3_T2_PKS4_S6_PKS3_PKT1_21rocsparse_index_base_S6_S6_S8_PS9_SC_S6_S6_S8_SD_SC_SD_PNS_15floating_traitsIS9_E6data_tEPKSG_,comdat
.Lfunc_end37:
	.size	_ZN9rocsparseL17kernel_correctionILi1024ELi4E21rocsparse_complex_numIfEiiEEvT3_T2_PKS4_S6_PKS3_PKT1_21rocsparse_index_base_S6_S6_S8_PS9_SC_S6_S6_S8_SD_SC_SD_PNS_15floating_traitsIS9_E6data_tEPKSG_, .Lfunc_end37-_ZN9rocsparseL17kernel_correctionILi1024ELi4E21rocsparse_complex_numIfEiiEEvT3_T2_PKS4_S6_PKS3_PKT1_21rocsparse_index_base_S6_S6_S8_PS9_SC_S6_S6_S8_SD_SC_SD_PNS_15floating_traitsIS9_E6data_tEPKSG_
                                        ; -- End function
	.set _ZN9rocsparseL17kernel_correctionILi1024ELi4E21rocsparse_complex_numIfEiiEEvT3_T2_PKS4_S6_PKS3_PKT1_21rocsparse_index_base_S6_S6_S8_PS9_SC_S6_S6_S8_SD_SC_SD_PNS_15floating_traitsIS9_E6data_tEPKSG_.num_vgpr, 35
	.set _ZN9rocsparseL17kernel_correctionILi1024ELi4E21rocsparse_complex_numIfEiiEEvT3_T2_PKS4_S6_PKS3_PKT1_21rocsparse_index_base_S6_S6_S8_PS9_SC_S6_S6_S8_SD_SC_SD_PNS_15floating_traitsIS9_E6data_tEPKSG_.num_agpr, 0
	.set _ZN9rocsparseL17kernel_correctionILi1024ELi4E21rocsparse_complex_numIfEiiEEvT3_T2_PKS4_S6_PKS3_PKT1_21rocsparse_index_base_S6_S6_S8_PS9_SC_S6_S6_S8_SD_SC_SD_PNS_15floating_traitsIS9_E6data_tEPKSG_.numbered_sgpr, 52
	.set _ZN9rocsparseL17kernel_correctionILi1024ELi4E21rocsparse_complex_numIfEiiEEvT3_T2_PKS4_S6_PKS3_PKT1_21rocsparse_index_base_S6_S6_S8_PS9_SC_S6_S6_S8_SD_SC_SD_PNS_15floating_traitsIS9_E6data_tEPKSG_.num_named_barrier, 0
	.set _ZN9rocsparseL17kernel_correctionILi1024ELi4E21rocsparse_complex_numIfEiiEEvT3_T2_PKS4_S6_PKS3_PKT1_21rocsparse_index_base_S6_S6_S8_PS9_SC_S6_S6_S8_SD_SC_SD_PNS_15floating_traitsIS9_E6data_tEPKSG_.private_seg_size, 0
	.set _ZN9rocsparseL17kernel_correctionILi1024ELi4E21rocsparse_complex_numIfEiiEEvT3_T2_PKS4_S6_PKS3_PKT1_21rocsparse_index_base_S6_S6_S8_PS9_SC_S6_S6_S8_SD_SC_SD_PNS_15floating_traitsIS9_E6data_tEPKSG_.uses_vcc, 1
	.set _ZN9rocsparseL17kernel_correctionILi1024ELi4E21rocsparse_complex_numIfEiiEEvT3_T2_PKS4_S6_PKS3_PKT1_21rocsparse_index_base_S6_S6_S8_PS9_SC_S6_S6_S8_SD_SC_SD_PNS_15floating_traitsIS9_E6data_tEPKSG_.uses_flat_scratch, 0
	.set _ZN9rocsparseL17kernel_correctionILi1024ELi4E21rocsparse_complex_numIfEiiEEvT3_T2_PKS4_S6_PKS3_PKT1_21rocsparse_index_base_S6_S6_S8_PS9_SC_S6_S6_S8_SD_SC_SD_PNS_15floating_traitsIS9_E6data_tEPKSG_.has_dyn_sized_stack, 0
	.set _ZN9rocsparseL17kernel_correctionILi1024ELi4E21rocsparse_complex_numIfEiiEEvT3_T2_PKS4_S6_PKS3_PKT1_21rocsparse_index_base_S6_S6_S8_PS9_SC_S6_S6_S8_SD_SC_SD_PNS_15floating_traitsIS9_E6data_tEPKSG_.has_recursion, 0
	.set _ZN9rocsparseL17kernel_correctionILi1024ELi4E21rocsparse_complex_numIfEiiEEvT3_T2_PKS4_S6_PKS3_PKT1_21rocsparse_index_base_S6_S6_S8_PS9_SC_S6_S6_S8_SD_SC_SD_PNS_15floating_traitsIS9_E6data_tEPKSG_.has_indirect_call, 0
	.section	.AMDGPU.csdata,"",@progbits
; Kernel info:
; codeLenInByte = 4420
; TotalNumSgprs: 54
; NumVgprs: 35
; ScratchSize: 0
; MemoryBound: 0
; FloatMode: 240
; IeeeMode: 1
; LDSByteSize: 1024 bytes/workgroup (compile time only)
; SGPRBlocks: 0
; VGPRBlocks: 4
; NumSGPRsForWavesPerEU: 54
; NumVGPRsForWavesPerEU: 35
; Occupancy: 16
; WaveLimiterHint : 1
; COMPUTE_PGM_RSRC2:SCRATCH_EN: 0
; COMPUTE_PGM_RSRC2:USER_SGPR: 6
; COMPUTE_PGM_RSRC2:TRAP_HANDLER: 0
; COMPUTE_PGM_RSRC2:TGID_X_EN: 1
; COMPUTE_PGM_RSRC2:TGID_Y_EN: 0
; COMPUTE_PGM_RSRC2:TGID_Z_EN: 0
; COMPUTE_PGM_RSRC2:TIDIG_COMP_CNT: 0
	.section	.text._ZN9rocsparseL17kernel_correctionILi1024ELi8E21rocsparse_complex_numIfEiiEEvT3_T2_PKS4_S6_PKS3_PKT1_21rocsparse_index_base_S6_S6_S8_PS9_SC_S6_S6_S8_SD_SC_SD_PNS_15floating_traitsIS9_E6data_tEPKSG_,"axG",@progbits,_ZN9rocsparseL17kernel_correctionILi1024ELi8E21rocsparse_complex_numIfEiiEEvT3_T2_PKS4_S6_PKS3_PKT1_21rocsparse_index_base_S6_S6_S8_PS9_SC_S6_S6_S8_SD_SC_SD_PNS_15floating_traitsIS9_E6data_tEPKSG_,comdat
	.globl	_ZN9rocsparseL17kernel_correctionILi1024ELi8E21rocsparse_complex_numIfEiiEEvT3_T2_PKS4_S6_PKS3_PKT1_21rocsparse_index_base_S6_S6_S8_PS9_SC_S6_S6_S8_SD_SC_SD_PNS_15floating_traitsIS9_E6data_tEPKSG_ ; -- Begin function _ZN9rocsparseL17kernel_correctionILi1024ELi8E21rocsparse_complex_numIfEiiEEvT3_T2_PKS4_S6_PKS3_PKT1_21rocsparse_index_base_S6_S6_S8_PS9_SC_S6_S6_S8_SD_SC_SD_PNS_15floating_traitsIS9_E6data_tEPKSG_
	.p2align	8
	.type	_ZN9rocsparseL17kernel_correctionILi1024ELi8E21rocsparse_complex_numIfEiiEEvT3_T2_PKS4_S6_PKS3_PKT1_21rocsparse_index_base_S6_S6_S8_PS9_SC_S6_S6_S8_SD_SC_SD_PNS_15floating_traitsIS9_E6data_tEPKSG_,@function
_ZN9rocsparseL17kernel_correctionILi1024ELi8E21rocsparse_complex_numIfEiiEEvT3_T2_PKS4_S6_PKS3_PKT1_21rocsparse_index_base_S6_S6_S8_PS9_SC_S6_S6_S8_SD_SC_SD_PNS_15floating_traitsIS9_E6data_tEPKSG_: ; @_ZN9rocsparseL17kernel_correctionILi1024ELi8E21rocsparse_complex_numIfEiiEEvT3_T2_PKS4_S6_PKS3_PKT1_21rocsparse_index_base_S6_S6_S8_PS9_SC_S6_S6_S8_SD_SC_SD_PNS_15floating_traitsIS9_E6data_tEPKSG_
; %bb.0:
	s_load_dword s34, s[4:5], 0x0
	v_lshrrev_b32_e32 v15, 3, v0
	s_lshl_b32 s36, s6, 10
	v_and_b32_e32 v16, 7, v0
	v_mov_b32_e32 v17, 0
	s_mov_b32 s33, exec_lo
	v_or_b32_e32 v1, s36, v15
	s_waitcnt lgkmcnt(0)
	v_cmpx_gt_i32_e64 s34, v1
	s_cbranch_execz .LBB38_81
; %bb.1:
	v_mov_b32_e32 v17, 0
	s_addk_i32 s36, 0x400
	s_mov_b32 s35, exec_lo
	v_cmpx_gt_u32_e64 s36, v1
	s_cbranch_execz .LBB38_80
; %bb.2:
	s_clause 0x6
	s_load_dword s37, s[4:5], 0x28
	s_load_dwordx8 s[8:15], s[4:5], 0x58
	s_load_dwordx8 s[16:23], s[4:5], 0x30
	;; [unrolled: 1-line block ×3, first 2 shown]
	s_load_dword s38, s[4:5], 0x50
	s_load_dwordx2 s[6:7], s[4:5], 0x80
	s_load_dword s39, s[4:5], 0x78
	v_mov_b32_e32 v3, 0
	v_mov_b32_e32 v17, 0
	s_mov_b32 s40, 0
	s_waitcnt lgkmcnt(0)
	v_subrev_nc_u32_e32 v18, s37, v16
	s_branch .LBB38_6
.LBB38_3:                               ;   in Loop: Header=BB38_6 Depth=1
	s_or_b32 exec_lo, exec_lo, s43
.LBB38_4:                               ;   in Loop: Header=BB38_6 Depth=1
	s_or_b32 exec_lo, exec_lo, s42
.LBB38_5:                               ;   in Loop: Header=BB38_6 Depth=1
	s_or_b32 exec_lo, exec_lo, s41
	v_add_nc_u32_e32 v1, 0x80, v1
	v_cmp_le_u32_e32 vcc_lo, s36, v1
	s_or_b32 s40, vcc_lo, s40
	s_andn2_b32 exec_lo, exec_lo, s40
	s_cbranch_execz .LBB38_79
.LBB38_6:                               ; =>This Loop Header: Depth=1
                                        ;     Child Loop BB38_10 Depth 2
                                        ;       Child Loop BB38_14 Depth 3
                                        ;       Child Loop BB38_36 Depth 3
	;; [unrolled: 1-line block ×5, first 2 shown]
	s_mov_b32 s41, exec_lo
	v_cmpx_gt_i32_e64 s34, v1
	s_cbranch_execz .LBB38_5
; %bb.7:                                ;   in Loop: Header=BB38_6 Depth=1
	v_ashrrev_i32_e32 v2, 31, v1
	s_mov_b32 s42, exec_lo
	v_lshlrev_b64 v[5:6], 2, v[1:2]
	v_add_co_u32 v7, vcc_lo, s24, v5
	v_add_co_ci_u32_e64 v8, null, s25, v6, vcc_lo
	v_add_co_u32 v9, vcc_lo, s26, v5
	v_add_co_ci_u32_e64 v10, null, s27, v6, vcc_lo
	global_load_dword v2, v[7:8], off
	global_load_dword v7, v[9:10], off
	s_waitcnt vmcnt(1)
	v_add_nc_u32_e32 v4, v18, v2
	s_waitcnt vmcnt(0)
	v_subrev_nc_u32_e32 v19, s37, v7
	v_cmpx_lt_i32_e64 v4, v19
	s_cbranch_execz .LBB38_4
; %bb.8:                                ;   in Loop: Header=BB38_6 Depth=1
	v_add_co_u32 v7, vcc_lo, s16, v5
	v_add_co_ci_u32_e64 v8, null, s17, v6, vcc_lo
	v_add_co_u32 v5, vcc_lo, s18, v5
	v_add_co_ci_u32_e64 v6, null, s19, v6, vcc_lo
	global_load_dword v2, v[7:8], off
	s_mov_b32 s43, 0
	global_load_dword v5, v[5:6], off
	s_waitcnt vmcnt(1)
	v_subrev_nc_u32_e32 v6, s38, v2
	s_waitcnt vmcnt(0)
	v_sub_nc_u32_e32 v20, v5, v2
	v_ashrrev_i32_e32 v7, 31, v6
	v_cmp_lt_i32_e64 s0, 0, v20
	v_lshlrev_b64 v[8:9], 2, v[6:7]
	v_lshlrev_b64 v[10:11], 3, v[6:7]
	v_add_co_u32 v21, vcc_lo, s20, v8
	v_add_co_ci_u32_e64 v22, null, s21, v9, vcc_lo
	v_add_co_u32 v23, vcc_lo, s22, v10
	v_add_co_ci_u32_e64 v24, null, s23, v11, vcc_lo
	s_branch .LBB38_10
.LBB38_9:                               ;   in Loop: Header=BB38_10 Depth=2
	s_or_b32 exec_lo, exec_lo, s3
	v_add_nc_u32_e32 v4, 8, v4
	v_cmp_nlg_f32_e64 s2, 0x7f800000, |v13|
	v_cmp_gt_f32_e32 vcc_lo, v17, v13
	v_cmp_ge_i32_e64 s1, v4, v19
	s_or_b32 vcc_lo, s2, vcc_lo
	v_cndmask_b32_e32 v17, v13, v17, vcc_lo
	s_or_b32 s43, s1, s43
	s_andn2_b32 exec_lo, exec_lo, s43
	s_cbranch_execz .LBB38_3
.LBB38_10:                              ;   Parent Loop BB38_6 Depth=1
                                        ; =>  This Loop Header: Depth=2
                                        ;       Child Loop BB38_14 Depth 3
                                        ;       Child Loop BB38_36 Depth 3
	;; [unrolled: 1-line block ×5, first 2 shown]
	v_ashrrev_i32_e32 v5, 31, v4
	v_mov_b32_e32 v27, 0
	v_mov_b32_e32 v28, 0
	v_lshlrev_b64 v[7:8], 2, v[4:5]
	v_add_co_u32 v7, vcc_lo, s28, v7
	v_add_co_ci_u32_e64 v8, null, s29, v8, vcc_lo
	global_load_dword v2, v[7:8], off
	s_waitcnt vmcnt(0)
	v_subrev_nc_u32_e32 v7, s37, v2
	v_mov_b32_e32 v2, 0
	v_ashrrev_i32_e32 v8, 31, v7
	v_lshlrev_b64 v[9:10], 2, v[7:8]
	v_add_co_u32 v11, vcc_lo, s8, v9
	v_add_co_ci_u32_e64 v12, null, s9, v10, vcc_lo
	v_add_co_u32 v9, vcc_lo, s10, v9
	v_add_co_ci_u32_e64 v10, null, s11, v10, vcc_lo
	global_load_dword v11, v[11:12], off
	global_load_dword v10, v[9:10], off
	s_waitcnt vmcnt(1)
	v_subrev_nc_u32_e32 v9, s39, v11
	s_waitcnt vmcnt(0)
	v_sub_nc_u32_e32 v25, v10, v11
	v_mov_b32_e32 v10, v2
	s_and_saveexec_b32 s2, s0
	s_cbranch_execz .LBB38_18
; %bb.11:                               ;   in Loop: Header=BB38_10 Depth=2
	v_ashrrev_i32_e32 v10, 31, v9
	v_mov_b32_e32 v27, 0
	v_mov_b32_e32 v2, 0
	;; [unrolled: 1-line block ×3, first 2 shown]
	s_mov_b32 s3, 0
	v_lshlrev_b64 v[12:13], 2, v[9:10]
	v_lshlrev_b64 v[10:11], 3, v[9:10]
                                        ; implicit-def: $sgpr44
	v_add_co_u32 v12, vcc_lo, s12, v12
	v_add_co_ci_u32_e64 v13, null, s13, v13, vcc_lo
	v_add_co_u32 v14, vcc_lo, s14, v10
	v_add_co_ci_u32_e64 v26, null, s15, v11, vcc_lo
	v_mov_b32_e32 v10, 0
	s_branch .LBB38_14
.LBB38_12:                              ;   in Loop: Header=BB38_14 Depth=3
	s_or_b32 exec_lo, exec_lo, s1
	v_cmp_le_i32_e32 vcc_lo, v29, v30
	v_cmp_ge_i32_e64 s1, v29, v30
	v_add_co_ci_u32_e64 v2, null, 0, v2, vcc_lo
	v_add_co_ci_u32_e64 v10, null, 0, v10, s1
	s_andn2_b32 s1, s44, exec_lo
	v_cmp_ge_i32_e32 vcc_lo, v2, v20
	s_and_b32 s44, vcc_lo, exec_lo
	s_or_b32 s44, s1, s44
.LBB38_13:                              ;   in Loop: Header=BB38_14 Depth=3
	s_or_b32 exec_lo, exec_lo, s45
	s_and_b32 s1, exec_lo, s44
	s_or_b32 s3, s1, s3
	s_andn2_b32 exec_lo, exec_lo, s3
	s_cbranch_execz .LBB38_17
.LBB38_14:                              ;   Parent Loop BB38_6 Depth=1
                                        ;     Parent Loop BB38_10 Depth=2
                                        ; =>    This Inner Loop Header: Depth=3
	s_or_b32 s44, s44, exec_lo
	s_mov_b32 s45, exec_lo
	v_cmpx_lt_i32_e64 v10, v25
	s_cbranch_execz .LBB38_13
; %bb.15:                               ;   in Loop: Header=BB38_14 Depth=3
	v_mov_b32_e32 v11, v3
	v_lshlrev_b64 v[29:30], 2, v[2:3]
	s_mov_b32 s1, exec_lo
	v_lshlrev_b64 v[31:32], 2, v[10:11]
	v_add_co_u32 v29, vcc_lo, v21, v29
	v_add_co_ci_u32_e64 v30, null, v22, v30, vcc_lo
	v_add_co_u32 v31, vcc_lo, v12, v31
	v_add_co_ci_u32_e64 v32, null, v13, v32, vcc_lo
	global_load_dword v29, v[29:30], off
	global_load_dword v30, v[31:32], off
	s_waitcnt vmcnt(1)
	v_subrev_nc_u32_e32 v29, s38, v29
	s_waitcnt vmcnt(0)
	v_subrev_nc_u32_e32 v30, s39, v30
	v_cmpx_eq_u32_e64 v29, v30
	s_cbranch_execz .LBB38_12
; %bb.16:                               ;   in Loop: Header=BB38_14 Depth=3
	v_lshlrev_b64 v[31:32], 3, v[2:3]
	v_lshlrev_b64 v[33:34], 3, v[10:11]
	v_add_co_u32 v31, vcc_lo, v23, v31
	v_add_co_ci_u32_e64 v32, null, v24, v32, vcc_lo
	v_add_co_u32 v33, vcc_lo, v14, v33
	v_add_co_ci_u32_e64 v34, null, v26, v34, vcc_lo
	global_load_dwordx2 v[31:32], v[31:32], off
	global_load_dwordx2 v[33:34], v[33:34], off
	s_waitcnt vmcnt(0)
	v_fmac_f32_e32 v27, v31, v33
	v_fmac_f32_e32 v28, v32, v33
	v_fma_f32 v27, -v32, v34, v27
	v_fmac_f32_e32 v28, v31, v34
	s_branch .LBB38_12
.LBB38_17:                              ;   in Loop: Header=BB38_10 Depth=2
	s_or_b32 exec_lo, exec_lo, s3
.LBB38_18:                              ;   in Loop: Header=BB38_10 Depth=2
	s_or_b32 exec_lo, exec_lo, s2
	v_lshlrev_b64 v[11:12], 3, v[4:5]
	v_cmp_le_i32_e64 s2, v1, v7
	s_mov_b32 s1, exec_lo
	v_add_co_u32 v11, vcc_lo, s30, v11
	v_add_co_ci_u32_e64 v12, null, s31, v12, vcc_lo
	global_load_dwordx2 v[11:12], v[11:12], off
	s_waitcnt vmcnt(0)
	v_sub_f32_e32 v26, v11, v27
	v_sub_f32_e32 v5, v12, v28
	v_cmpx_gt_i32_e64 v1, v7
	s_cbranch_execz .LBB38_20
; %bb.19:                               ;   in Loop: Header=BB38_10 Depth=2
	v_lshlrev_b64 v[13:14], 3, v[7:8]
	v_add_co_u32 v13, vcc_lo, s6, v13
	v_add_co_ci_u32_e64 v14, null, s7, v14, vcc_lo
	global_load_dwordx2 v[13:14], v[13:14], off
	s_waitcnt vmcnt(0)
	v_mul_f32_e32 v29, v14, v14
	v_fmac_f32_e32 v29, v13, v13
	v_div_scale_f32 v30, null, v29, v29, 1.0
	v_div_scale_f32 v33, vcc_lo, 1.0, v29, 1.0
	v_rcp_f32_e32 v31, v30
	v_fma_f32 v32, -v30, v31, 1.0
	v_fmac_f32_e32 v31, v32, v31
	v_mul_f32_e32 v32, v33, v31
	v_fma_f32 v34, -v30, v32, v33
	v_fmac_f32_e32 v32, v34, v31
	v_fma_f32 v30, -v30, v32, v33
	v_div_fmas_f32 v30, v30, v31, v32
	v_mul_f32_e32 v31, v5, v14
	v_mul_f32_e64 v14, v14, -v26
	v_div_fixup_f32 v29, v30, v29, 1.0
	v_fmac_f32_e32 v31, v26, v13
	v_fmac_f32_e32 v14, v5, v13
	v_mul_f32_e32 v26, v31, v29
	v_mul_f32_e32 v5, v14, v29
.LBB38_20:                              ;   in Loop: Header=BB38_10 Depth=2
	s_or_b32 exec_lo, exec_lo, s1
	v_cmp_lt_i32_e64 s1, v10, v25
	s_mov_b32 s3, exec_lo
	v_cmpx_ge_i32_e64 v10, v25
	s_xor_b32 s3, exec_lo, s3
	s_cbranch_execnz .LBB38_33
; %bb.21:                               ;   in Loop: Header=BB38_10 Depth=2
	s_andn2_saveexec_b32 s3, s3
	s_cbranch_execnz .LBB38_49
.LBB38_22:                              ;   in Loop: Header=BB38_10 Depth=2
	s_or_b32 exec_lo, exec_lo, s3
	s_mov_b32 s3, exec_lo
	v_cmpx_eq_u32_e64 v1, v7
	s_cbranch_execz .LBB38_24
.LBB38_23:                              ;   in Loop: Header=BB38_10 Depth=2
	v_lshlrev_b64 v[13:14], 3, v[7:8]
	v_add_co_u32 v13, vcc_lo, s6, v13
	v_add_co_ci_u32_e64 v14, null, s7, v14, vcc_lo
	global_load_dwordx2 v[13:14], v[13:14], off
	s_waitcnt vmcnt(0)
	v_add_f32_e32 v27, v27, v13
	v_add_f32_e32 v28, v28, v14
.LBB38_24:                              ;   in Loop: Header=BB38_10 Depth=2
	s_or_b32 exec_lo, exec_lo, s3
	v_sub_f32_e32 v11, v11, v27
	v_sub_f32_e32 v14, v12, v28
                                        ; implicit-def: $vgpr13
	s_mov_b32 s3, exec_lo
	v_cmp_gt_f32_e32 vcc_lo, 0, v11
	v_cndmask_b32_e64 v11, v11, -v11, vcc_lo
	v_cmp_gt_f32_e32 vcc_lo, 0, v14
	v_cndmask_b32_e64 v12, v14, -v14, vcc_lo
	v_cmpx_ngt_f32_e32 v11, v12
	s_xor_b32 s44, exec_lo, s3
	s_cbranch_execz .LBB38_28
; %bb.25:                               ;   in Loop: Header=BB38_10 Depth=2
	v_mov_b32_e32 v13, 0
	s_mov_b32 s45, exec_lo
	v_cmpx_neq_f32_e32 0, v14
	s_cbranch_execz .LBB38_27
; %bb.26:                               ;   in Loop: Header=BB38_10 Depth=2
	v_div_scale_f32 v13, null, v12, v12, v11
	v_div_scale_f32 v28, vcc_lo, v11, v12, v11
	v_rcp_f32_e32 v14, v13
	v_fma_f32 v27, -v13, v14, 1.0
	v_fmac_f32_e32 v14, v27, v14
	v_mul_f32_e32 v27, v28, v14
	v_fma_f32 v29, -v13, v27, v28
	v_fmac_f32_e32 v27, v29, v14
	v_fma_f32 v13, -v13, v27, v28
	v_div_fmas_f32 v13, v13, v14, v27
	v_div_fixup_f32 v11, v13, v12, v11
	v_fma_f32 v11, v11, v11, 1.0
	v_mul_f32_e32 v13, 0x4f800000, v11
	v_cmp_gt_f32_e32 vcc_lo, 0xf800000, v11
	v_cndmask_b32_e32 v11, v11, v13, vcc_lo
	v_sqrt_f32_e32 v13, v11
	v_add_nc_u32_e32 v14, -1, v13
	v_add_nc_u32_e32 v27, 1, v13
	v_fma_f32 v28, -v14, v13, v11
	v_fma_f32 v29, -v27, v13, v11
	v_cmp_ge_f32_e64 s3, 0, v28
	v_cndmask_b32_e64 v13, v13, v14, s3
	v_cmp_lt_f32_e64 s3, 0, v29
	v_cndmask_b32_e64 v13, v13, v27, s3
	v_mul_f32_e32 v14, 0x37800000, v13
	v_cndmask_b32_e32 v13, v13, v14, vcc_lo
	v_cmp_class_f32_e64 vcc_lo, v11, 0x260
	v_cndmask_b32_e32 v11, v13, v11, vcc_lo
	v_mul_f32_e32 v13, v12, v11
.LBB38_27:                              ;   in Loop: Header=BB38_10 Depth=2
	s_or_b32 exec_lo, exec_lo, s45
                                        ; implicit-def: $vgpr11
                                        ; implicit-def: $vgpr12
.LBB38_28:                              ;   in Loop: Header=BB38_10 Depth=2
	s_andn2_saveexec_b32 s44, s44
	s_cbranch_execz .LBB38_30
; %bb.29:                               ;   in Loop: Header=BB38_10 Depth=2
	v_div_scale_f32 v13, null, v11, v11, v12
	v_div_scale_f32 v28, vcc_lo, v12, v11, v12
	v_rcp_f32_e32 v14, v13
	v_fma_f32 v27, -v13, v14, 1.0
	v_fmac_f32_e32 v14, v27, v14
	v_mul_f32_e32 v27, v28, v14
	v_fma_f32 v29, -v13, v27, v28
	v_fmac_f32_e32 v27, v29, v14
	v_fma_f32 v13, -v13, v27, v28
	v_div_fmas_f32 v13, v13, v14, v27
	v_div_fixup_f32 v12, v13, v11, v12
	v_fma_f32 v12, v12, v12, 1.0
	v_mul_f32_e32 v13, 0x4f800000, v12
	v_cmp_gt_f32_e32 vcc_lo, 0xf800000, v12
	v_cndmask_b32_e32 v12, v12, v13, vcc_lo
	v_sqrt_f32_e32 v13, v12
	v_add_nc_u32_e32 v14, -1, v13
	v_add_nc_u32_e32 v27, 1, v13
	v_fma_f32 v28, -v14, v13, v12
	v_fma_f32 v29, -v27, v13, v12
	v_cmp_ge_f32_e64 s3, 0, v28
	v_cndmask_b32_e64 v13, v13, v14, s3
	v_cmp_lt_f32_e64 s3, 0, v29
	v_cndmask_b32_e64 v13, v13, v27, s3
	v_mul_f32_e32 v14, 0x37800000, v13
	v_cndmask_b32_e32 v13, v13, v14, vcc_lo
	v_cmp_class_f32_e64 vcc_lo, v12, 0x260
	v_cndmask_b32_e32 v12, v13, v12, vcc_lo
	v_mul_f32_e32 v13, v11, v12
.LBB38_30:                              ;   in Loop: Header=BB38_10 Depth=2
	s_or_b32 exec_lo, exec_lo, s44
	v_cmp_gt_f32_e32 vcc_lo, 0, v26
                                        ; implicit-def: $vgpr14
	s_mov_b32 s3, exec_lo
	v_cndmask_b32_e64 v11, v26, -v26, vcc_lo
	v_cmp_gt_f32_e32 vcc_lo, 0, v5
	v_cndmask_b32_e64 v12, v5, -v5, vcc_lo
	v_cmpx_ngt_f32_e32 v11, v12
	s_xor_b32 s44, exec_lo, s3
	s_cbranch_execnz .LBB38_38
; %bb.31:                               ;   in Loop: Header=BB38_10 Depth=2
	s_andn2_saveexec_b32 s44, s44
	s_cbranch_execnz .LBB38_41
.LBB38_32:                              ;   in Loop: Header=BB38_10 Depth=2
	s_or_b32 exec_lo, exec_lo, s44
	v_cmp_class_f32_e64 s44, v14, 0x1f8
	s_and_saveexec_b32 s3, s44
	s_cbranch_execz .LBB38_9
	s_branch .LBB38_42
.LBB38_33:                              ;   in Loop: Header=BB38_10 Depth=2
	s_mov_b32 s44, exec_lo
	v_cmpx_lt_i32_e64 v2, v20
	s_cbranch_execz .LBB38_48
; %bb.34:                               ;   in Loop: Header=BB38_10 Depth=2
	v_mov_b32_e32 v29, v2
	s_mov_b32 s46, 0
                                        ; implicit-def: $sgpr45
                                        ; implicit-def: $sgpr48
                                        ; implicit-def: $sgpr47
	s_inst_prefetch 0x1
	s_branch .LBB38_36
	.p2align	6
.LBB38_35:                              ;   in Loop: Header=BB38_36 Depth=3
	s_or_b32 exec_lo, exec_lo, s49
	s_and_b32 s49, exec_lo, s48
	s_or_b32 s46, s49, s46
	s_andn2_b32 s45, s45, exec_lo
	s_and_b32 s49, s47, exec_lo
	s_or_b32 s45, s45, s49
	s_andn2_b32 exec_lo, exec_lo, s46
	s_cbranch_execz .LBB38_45
.LBB38_36:                              ;   Parent Loop BB38_6 Depth=1
                                        ;     Parent Loop BB38_10 Depth=2
                                        ; =>    This Inner Loop Header: Depth=3
	v_add_nc_u32_e32 v13, v6, v29
	s_or_b32 s47, s47, exec_lo
	s_or_b32 s48, s48, exec_lo
	s_mov_b32 s49, exec_lo
	v_ashrrev_i32_e32 v14, 31, v13
	v_lshlrev_b64 v[30:31], 2, v[13:14]
	v_add_co_u32 v30, vcc_lo, s20, v30
	v_add_co_ci_u32_e64 v31, null, s21, v31, vcc_lo
	global_load_dword v30, v[30:31], off
	s_waitcnt vmcnt(0)
	v_subrev_nc_u32_e32 v30, s38, v30
	v_cmpx_ne_u32_e64 v30, v7
	s_cbranch_execz .LBB38_35
; %bb.37:                               ;   in Loop: Header=BB38_36 Depth=3
	v_add_nc_u32_e32 v29, 1, v29
	s_andn2_b32 s48, s48, exec_lo
	s_andn2_b32 s47, s47, exec_lo
	v_cmp_ge_i32_e32 vcc_lo, v29, v20
	s_and_b32 s50, vcc_lo, exec_lo
	s_or_b32 s48, s48, s50
	s_branch .LBB38_35
.LBB38_38:                              ;   in Loop: Header=BB38_10 Depth=2
	v_mov_b32_e32 v14, 0
	s_mov_b32 s45, exec_lo
	v_cmpx_neq_f32_e32 0, v5
	s_cbranch_execz .LBB38_40
; %bb.39:                               ;   in Loop: Header=BB38_10 Depth=2
	v_div_scale_f32 v14, null, v12, v12, v11
	v_div_scale_f32 v29, vcc_lo, v11, v12, v11
	v_rcp_f32_e32 v27, v14
	v_fma_f32 v28, -v14, v27, 1.0
	v_fmac_f32_e32 v27, v28, v27
	v_mul_f32_e32 v28, v29, v27
	v_fma_f32 v30, -v14, v28, v29
	v_fmac_f32_e32 v28, v30, v27
	v_fma_f32 v14, -v14, v28, v29
	v_div_fmas_f32 v14, v14, v27, v28
	v_div_fixup_f32 v11, v14, v12, v11
	v_fma_f32 v11, v11, v11, 1.0
	v_mul_f32_e32 v14, 0x4f800000, v11
	v_cmp_gt_f32_e32 vcc_lo, 0xf800000, v11
	v_cndmask_b32_e32 v11, v11, v14, vcc_lo
	v_sqrt_f32_e32 v14, v11
	v_add_nc_u32_e32 v27, -1, v14
	v_add_nc_u32_e32 v28, 1, v14
	v_fma_f32 v29, -v27, v14, v11
	v_fma_f32 v30, -v28, v14, v11
	v_cmp_ge_f32_e64 s3, 0, v29
	v_cndmask_b32_e64 v14, v14, v27, s3
	v_cmp_lt_f32_e64 s3, 0, v30
	v_cndmask_b32_e64 v14, v14, v28, s3
	v_mul_f32_e32 v27, 0x37800000, v14
	v_cndmask_b32_e32 v14, v14, v27, vcc_lo
	v_cmp_class_f32_e64 vcc_lo, v11, 0x260
	v_cndmask_b32_e32 v11, v14, v11, vcc_lo
	v_mul_f32_e32 v14, v12, v11
.LBB38_40:                              ;   in Loop: Header=BB38_10 Depth=2
	s_or_b32 exec_lo, exec_lo, s45
                                        ; implicit-def: $vgpr11
                                        ; implicit-def: $vgpr12
	s_andn2_saveexec_b32 s44, s44
	s_cbranch_execz .LBB38_32
.LBB38_41:                              ;   in Loop: Header=BB38_10 Depth=2
	v_div_scale_f32 v14, null, v11, v11, v12
	v_div_scale_f32 v29, vcc_lo, v12, v11, v12
	v_rcp_f32_e32 v27, v14
	v_fma_f32 v28, -v14, v27, 1.0
	v_fmac_f32_e32 v27, v28, v27
	v_mul_f32_e32 v28, v29, v27
	v_fma_f32 v30, -v14, v28, v29
	v_fmac_f32_e32 v28, v30, v27
	v_fma_f32 v14, -v14, v28, v29
	v_div_fmas_f32 v14, v14, v27, v28
	v_div_fixup_f32 v12, v14, v11, v12
	v_fma_f32 v12, v12, v12, 1.0
	v_mul_f32_e32 v14, 0x4f800000, v12
	v_cmp_gt_f32_e32 vcc_lo, 0xf800000, v12
	v_cndmask_b32_e32 v12, v12, v14, vcc_lo
	v_sqrt_f32_e32 v14, v12
	v_add_nc_u32_e32 v27, -1, v14
	v_add_nc_u32_e32 v28, 1, v14
	v_fma_f32 v29, -v27, v14, v12
	v_fma_f32 v30, -v28, v14, v12
	v_cmp_ge_f32_e64 s3, 0, v29
	v_cndmask_b32_e64 v14, v14, v27, s3
	v_cmp_lt_f32_e64 s3, 0, v30
	v_cndmask_b32_e64 v14, v14, v28, s3
	v_mul_f32_e32 v27, 0x37800000, v14
	v_cndmask_b32_e32 v14, v14, v27, vcc_lo
	v_cmp_class_f32_e64 vcc_lo, v12, 0x260
	v_cndmask_b32_e32 v12, v14, v12, vcc_lo
	v_mul_f32_e32 v14, v11, v12
	s_or_b32 exec_lo, exec_lo, s44
	v_cmp_class_f32_e64 s44, v14, 0x1f8
	s_and_saveexec_b32 s3, s44
	s_cbranch_execz .LBB38_9
.LBB38_42:                              ;   in Loop: Header=BB38_10 Depth=2
	s_mov_b32 s44, 0
                                        ; implicit-def: $vgpr11_vgpr12
	s_and_saveexec_b32 s45, s2
	s_xor_b32 s2, exec_lo, s45
	s_cbranch_execnz .LBB38_56
; %bb.43:                               ;   in Loop: Header=BB38_10 Depth=2
	s_andn2_saveexec_b32 s1, s2
	s_cbranch_execnz .LBB38_69
.LBB38_44:                              ;   in Loop: Header=BB38_10 Depth=2
	s_or_b32 exec_lo, exec_lo, s1
	s_and_b32 exec_lo, exec_lo, s44
	s_cbranch_execz .LBB38_9
	s_branch .LBB38_78
.LBB38_45:                              ;   in Loop: Header=BB38_10 Depth=2
	s_inst_prefetch 0x2
	s_or_b32 exec_lo, exec_lo, s46
	s_and_saveexec_b32 s46, s45
	s_xor_b32 s45, exec_lo, s46
	s_cbranch_execz .LBB38_47
; %bb.46:                               ;   in Loop: Header=BB38_10 Depth=2
	v_lshlrev_b64 v[13:14], 3, v[13:14]
	v_lshlrev_b64 v[29:30], 3, v[7:8]
	v_add_co_u32 v13, vcc_lo, s22, v13
	v_add_co_ci_u32_e64 v14, null, s23, v14, vcc_lo
	v_add_co_u32 v29, vcc_lo, s6, v29
	v_add_co_ci_u32_e64 v30, null, s7, v30, vcc_lo
	global_load_dwordx2 v[13:14], v[13:14], off
	global_load_dwordx2 v[29:30], v[29:30], off
	s_waitcnt vmcnt(0)
	v_mul_f32_e64 v31, v30, -v14
	v_mul_f32_e32 v30, v30, v13
	v_fmac_f32_e32 v31, v13, v29
	v_fmac_f32_e32 v30, v14, v29
	v_add_f32_e32 v27, v27, v31
	v_add_f32_e32 v28, v28, v30
.LBB38_47:                              ;   in Loop: Header=BB38_10 Depth=2
	s_or_b32 exec_lo, exec_lo, s45
.LBB38_48:                              ;   in Loop: Header=BB38_10 Depth=2
	s_or_b32 exec_lo, exec_lo, s44
	s_andn2_saveexec_b32 s3, s3
	s_cbranch_execz .LBB38_22
.LBB38_49:                              ;   in Loop: Header=BB38_10 Depth=2
	v_mov_b32_e32 v29, v10
	s_mov_b32 s45, 0
                                        ; implicit-def: $sgpr44
                                        ; implicit-def: $sgpr47
                                        ; implicit-def: $sgpr46
	s_inst_prefetch 0x1
	s_branch .LBB38_51
	.p2align	6
.LBB38_50:                              ;   in Loop: Header=BB38_51 Depth=3
	s_or_b32 exec_lo, exec_lo, s48
	s_and_b32 s48, exec_lo, s47
	s_or_b32 s45, s48, s45
	s_andn2_b32 s44, s44, exec_lo
	s_and_b32 s48, s46, exec_lo
	s_or_b32 s44, s44, s48
	s_andn2_b32 exec_lo, exec_lo, s45
	s_cbranch_execz .LBB38_53
.LBB38_51:                              ;   Parent Loop BB38_6 Depth=1
                                        ;     Parent Loop BB38_10 Depth=2
                                        ; =>    This Inner Loop Header: Depth=3
	v_add_nc_u32_e32 v13, v9, v29
	s_or_b32 s46, s46, exec_lo
	s_or_b32 s47, s47, exec_lo
	s_mov_b32 s48, exec_lo
	v_ashrrev_i32_e32 v14, 31, v13
	v_lshlrev_b64 v[30:31], 2, v[13:14]
	v_add_co_u32 v30, vcc_lo, s12, v30
	v_add_co_ci_u32_e64 v31, null, s13, v31, vcc_lo
	global_load_dword v30, v[30:31], off
	s_waitcnt vmcnt(0)
	v_subrev_nc_u32_e32 v30, s39, v30
	v_cmpx_ne_u32_e64 v30, v1
	s_cbranch_execz .LBB38_50
; %bb.52:                               ;   in Loop: Header=BB38_51 Depth=3
	v_add_nc_u32_e32 v29, 1, v29
	s_andn2_b32 s47, s47, exec_lo
	s_andn2_b32 s46, s46, exec_lo
	v_cmp_ge_i32_e32 vcc_lo, v29, v25
	s_and_b32 s49, vcc_lo, exec_lo
	s_or_b32 s47, s47, s49
	s_branch .LBB38_50
.LBB38_53:                              ;   in Loop: Header=BB38_10 Depth=2
	s_inst_prefetch 0x2
	s_or_b32 exec_lo, exec_lo, s45
	s_and_saveexec_b32 s45, s44
	s_xor_b32 s44, exec_lo, s45
	s_cbranch_execz .LBB38_55
; %bb.54:                               ;   in Loop: Header=BB38_10 Depth=2
	v_lshlrev_b64 v[13:14], 3, v[13:14]
	v_add_co_u32 v13, vcc_lo, s14, v13
	v_add_co_ci_u32_e64 v14, null, s15, v14, vcc_lo
	global_load_dwordx2 v[13:14], v[13:14], off
	s_waitcnt vmcnt(0)
	v_add_f32_e32 v27, v27, v13
	v_add_f32_e32 v28, v28, v14
.LBB38_55:                              ;   in Loop: Header=BB38_10 Depth=2
	s_or_b32 exec_lo, exec_lo, s44
	s_or_b32 exec_lo, exec_lo, s3
	s_mov_b32 s3, exec_lo
	v_cmpx_eq_u32_e64 v1, v7
	s_cbranch_execnz .LBB38_23
	s_branch .LBB38_24
.LBB38_56:                              ;   in Loop: Header=BB38_10 Depth=2
	s_mov_b32 s45, exec_lo
                                        ; implicit-def: $vgpr11_vgpr12
	v_cmpx_ge_i32_e64 v1, v7
	s_xor_b32 s45, exec_lo, s45
	s_cbranch_execz .LBB38_58
; %bb.57:                               ;   in Loop: Header=BB38_10 Depth=2
	v_lshlrev_b64 v[7:8], 3, v[7:8]
	s_mov_b32 s44, exec_lo
                                        ; implicit-def: $vgpr10
                                        ; implicit-def: $vgpr9
                                        ; implicit-def: $vgpr25
	v_add_co_u32 v11, vcc_lo, s6, v7
	v_add_co_ci_u32_e64 v12, null, s7, v8, vcc_lo
	global_store_dword v[11:12], v26, off
                                        ; implicit-def: $vgpr26
.LBB38_58:                              ;   in Loop: Header=BB38_10 Depth=2
	s_andn2_saveexec_b32 s45, s45
	s_cbranch_execz .LBB38_68
; %bb.59:                               ;   in Loop: Header=BB38_10 Depth=2
	s_mov_b32 s47, s44
                                        ; implicit-def: $vgpr11_vgpr12
	s_and_saveexec_b32 s46, s1
	s_cbranch_execz .LBB38_67
; %bb.60:                               ;   in Loop: Header=BB38_10 Depth=2
	s_mov_b32 s47, 0
                                        ; implicit-def: $sgpr1
                                        ; implicit-def: $sgpr49
                                        ; implicit-def: $sgpr48
	s_inst_prefetch 0x1
	s_branch .LBB38_62
	.p2align	6
.LBB38_61:                              ;   in Loop: Header=BB38_62 Depth=3
	s_or_b32 exec_lo, exec_lo, s50
	s_and_b32 s50, exec_lo, s49
	s_or_b32 s47, s50, s47
	s_andn2_b32 s1, s1, exec_lo
	s_and_b32 s50, s48, exec_lo
	s_or_b32 s1, s1, s50
	s_andn2_b32 exec_lo, exec_lo, s47
	s_cbranch_execz .LBB38_64
.LBB38_62:                              ;   Parent Loop BB38_6 Depth=1
                                        ;     Parent Loop BB38_10 Depth=2
                                        ; =>    This Inner Loop Header: Depth=3
	v_add_nc_u32_e32 v7, v9, v10
	s_or_b32 s48, s48, exec_lo
	s_or_b32 s49, s49, exec_lo
	s_mov_b32 s50, exec_lo
	v_ashrrev_i32_e32 v8, 31, v7
	v_lshlrev_b64 v[11:12], 2, v[7:8]
	v_add_co_u32 v11, vcc_lo, s12, v11
	v_add_co_ci_u32_e64 v12, null, s13, v12, vcc_lo
	global_load_dword v2, v[11:12], off
	s_waitcnt vmcnt(0)
	v_subrev_nc_u32_e32 v2, s39, v2
	v_cmpx_ne_u32_e64 v2, v1
	s_cbranch_execz .LBB38_61
; %bb.63:                               ;   in Loop: Header=BB38_62 Depth=3
	v_add_nc_u32_e32 v10, 1, v10
	s_andn2_b32 s49, s49, exec_lo
	s_andn2_b32 s48, s48, exec_lo
	v_cmp_ge_i32_e32 vcc_lo, v10, v25
	s_and_b32 s51, vcc_lo, exec_lo
	s_or_b32 s49, s49, s51
	s_branch .LBB38_61
.LBB38_64:                              ;   in Loop: Header=BB38_10 Depth=2
	s_inst_prefetch 0x2
	s_or_b32 exec_lo, exec_lo, s47
	s_mov_b32 s47, s44
                                        ; implicit-def: $vgpr11_vgpr12
	s_and_saveexec_b32 s48, s1
	s_xor_b32 s1, exec_lo, s48
	s_cbranch_execz .LBB38_66
; %bb.65:                               ;   in Loop: Header=BB38_10 Depth=2
	v_lshlrev_b64 v[7:8], 3, v[7:8]
	s_or_b32 s47, s44, exec_lo
	v_add_co_u32 v11, vcc_lo, s14, v7
	v_add_co_ci_u32_e64 v12, null, s15, v8, vcc_lo
	global_store_dword v[11:12], v26, off
.LBB38_66:                              ;   in Loop: Header=BB38_10 Depth=2
	s_or_b32 exec_lo, exec_lo, s1
	s_andn2_b32 s1, s44, exec_lo
	s_and_b32 s47, s47, exec_lo
	s_or_b32 s47, s1, s47
.LBB38_67:                              ;   in Loop: Header=BB38_10 Depth=2
	s_or_b32 exec_lo, exec_lo, s46
	s_andn2_b32 s1, s44, exec_lo
	s_and_b32 s44, s47, exec_lo
	s_or_b32 s44, s1, s44
.LBB38_68:                              ;   in Loop: Header=BB38_10 Depth=2
	s_or_b32 exec_lo, exec_lo, s45
	s_and_b32 s44, s44, exec_lo
                                        ; implicit-def: $vgpr26
                                        ; implicit-def: $vgpr7_vgpr8
	s_andn2_saveexec_b32 s1, s2
	s_cbranch_execz .LBB38_44
.LBB38_69:                              ;   in Loop: Header=BB38_10 Depth=2
	s_mov_b32 s45, s44
	s_mov_b32 s2, exec_lo
                                        ; implicit-def: $vgpr11_vgpr12
	v_cmpx_lt_i32_e64 v2, v20
	s_cbranch_execz .LBB38_77
; %bb.70:                               ;   in Loop: Header=BB38_10 Depth=2
	s_mov_b32 s46, 0
                                        ; implicit-def: $sgpr45
                                        ; implicit-def: $sgpr48
                                        ; implicit-def: $sgpr47
	s_inst_prefetch 0x1
	s_branch .LBB38_72
	.p2align	6
.LBB38_71:                              ;   in Loop: Header=BB38_72 Depth=3
	s_or_b32 exec_lo, exec_lo, s49
	s_and_b32 s49, exec_lo, s48
	s_or_b32 s46, s49, s46
	s_andn2_b32 s45, s45, exec_lo
	s_and_b32 s49, s47, exec_lo
	s_or_b32 s45, s45, s49
	s_andn2_b32 exec_lo, exec_lo, s46
	s_cbranch_execz .LBB38_74
.LBB38_72:                              ;   Parent Loop BB38_6 Depth=1
                                        ;     Parent Loop BB38_10 Depth=2
                                        ; =>    This Inner Loop Header: Depth=3
	v_add_nc_u32_e32 v8, v6, v2
	s_or_b32 s47, s47, exec_lo
	s_or_b32 s48, s48, exec_lo
	s_mov_b32 s49, exec_lo
	v_ashrrev_i32_e32 v9, 31, v8
	v_lshlrev_b64 v[10:11], 2, v[8:9]
	v_add_co_u32 v10, vcc_lo, s20, v10
	v_add_co_ci_u32_e64 v11, null, s21, v11, vcc_lo
	global_load_dword v10, v[10:11], off
	s_waitcnt vmcnt(0)
	v_subrev_nc_u32_e32 v10, s38, v10
	v_cmpx_ne_u32_e64 v10, v7
	s_cbranch_execz .LBB38_71
; %bb.73:                               ;   in Loop: Header=BB38_72 Depth=3
	v_add_nc_u32_e32 v2, 1, v2
	s_andn2_b32 s48, s48, exec_lo
	s_andn2_b32 s47, s47, exec_lo
	v_cmp_ge_i32_e32 vcc_lo, v2, v20
	s_and_b32 s50, vcc_lo, exec_lo
	s_or_b32 s48, s48, s50
	s_branch .LBB38_71
.LBB38_74:                              ;   in Loop: Header=BB38_10 Depth=2
	s_inst_prefetch 0x2
	s_or_b32 exec_lo, exec_lo, s46
	s_mov_b32 s46, s44
                                        ; implicit-def: $vgpr11_vgpr12
	s_and_saveexec_b32 s47, s45
	s_xor_b32 s45, exec_lo, s47
	s_cbranch_execz .LBB38_76
; %bb.75:                               ;   in Loop: Header=BB38_10 Depth=2
	v_lshlrev_b64 v[7:8], 3, v[8:9]
	s_or_b32 s46, s44, exec_lo
	v_add_co_u32 v11, vcc_lo, s22, v7
	v_add_co_ci_u32_e64 v12, null, s23, v8, vcc_lo
	global_store_dword v[11:12], v26, off
.LBB38_76:                              ;   in Loop: Header=BB38_10 Depth=2
	s_or_b32 exec_lo, exec_lo, s45
	s_andn2_b32 s45, s44, exec_lo
	s_and_b32 s46, s46, exec_lo
	s_or_b32 s45, s45, s46
.LBB38_77:                              ;   in Loop: Header=BB38_10 Depth=2
	s_or_b32 exec_lo, exec_lo, s2
	s_andn2_b32 s2, s44, exec_lo
	s_and_b32 s44, s45, exec_lo
	s_or_b32 s44, s2, s44
	s_or_b32 exec_lo, exec_lo, s1
	s_and_b32 exec_lo, exec_lo, s44
	s_cbranch_execz .LBB38_9
.LBB38_78:                              ;   in Loop: Header=BB38_10 Depth=2
	global_store_dword v[11:12], v5, off offset:4
	s_branch .LBB38_9
.LBB38_79:
	s_or_b32 exec_lo, exec_lo, s40
.LBB38_80:
	s_or_b32 exec_lo, exec_lo, s35
.LBB38_81:
	s_or_b32 exec_lo, exec_lo, s33
	v_mbcnt_lo_u32_b32 v1, -1, 0
	s_mov_b32 s0, exec_lo
	v_xor_b32_e32 v2, 4, v1
	v_xor_b32_e32 v3, 2, v1
	;; [unrolled: 1-line block ×3, first 2 shown]
	v_cmp_gt_i32_e32 vcc_lo, 32, v2
	v_cndmask_b32_e32 v2, v1, v2, vcc_lo
	v_cmp_gt_i32_e32 vcc_lo, 32, v3
	v_lshlrev_b32_e32 v2, 2, v2
	v_cndmask_b32_e32 v3, v1, v3, vcc_lo
	ds_bpermute_b32 v2, v2, v17
	v_lshlrev_b32_e32 v3, 2, v3
	s_waitcnt lgkmcnt(0)
	v_cmp_lt_f32_e32 vcc_lo, v17, v2
	v_cndmask_b32_e32 v2, v17, v2, vcc_lo
	v_cmp_gt_i32_e32 vcc_lo, 32, v4
	ds_bpermute_b32 v3, v3, v2
	v_cndmask_b32_e32 v4, v1, v4, vcc_lo
	s_waitcnt lgkmcnt(0)
	v_cmp_lt_f32_e32 vcc_lo, v2, v3
	v_cndmask_b32_e32 v1, v2, v3, vcc_lo
	v_lshlrev_b32_e32 v2, 2, v4
	ds_bpermute_b32 v2, v2, v1
	v_cmpx_eq_u32_e32 7, v16
	s_cbranch_execz .LBB38_83
; %bb.82:
	s_waitcnt lgkmcnt(0)
	v_cmp_lt_f32_e32 vcc_lo, v1, v2
	v_lshlrev_b32_e32 v3, 2, v15
	v_cndmask_b32_e32 v1, v1, v2, vcc_lo
	ds_write_b32 v3, v1
.LBB38_83:
	s_or_b32 exec_lo, exec_lo, s0
	v_lshlrev_b32_e32 v1, 2, v0
	s_mov_b32 s0, exec_lo
	s_waitcnt lgkmcnt(0)
	s_waitcnt_vscnt null, 0x0
	s_barrier
	buffer_gl0_inv
	v_cmpx_gt_u32_e32 64, v0
	s_cbranch_execz .LBB38_85
; %bb.84:
	ds_read2st64_b32 v[2:3], v1 offset1:1
	s_waitcnt lgkmcnt(0)
	v_cmp_lt_f32_e32 vcc_lo, v2, v3
	v_cndmask_b32_e32 v2, v2, v3, vcc_lo
	ds_write_b32 v1, v2
.LBB38_85:
	s_or_b32 exec_lo, exec_lo, s0
	s_mov_b32 s0, exec_lo
	s_waitcnt lgkmcnt(0)
	s_barrier
	buffer_gl0_inv
	v_cmpx_gt_u32_e32 32, v0
	s_cbranch_execz .LBB38_87
; %bb.86:
	ds_read2_b32 v[2:3], v1 offset1:32
	s_waitcnt lgkmcnt(0)
	v_cmp_lt_f32_e32 vcc_lo, v2, v3
	v_cndmask_b32_e32 v2, v2, v3, vcc_lo
	ds_write_b32 v1, v2
.LBB38_87:
	s_or_b32 exec_lo, exec_lo, s0
	s_mov_b32 s0, exec_lo
	s_waitcnt lgkmcnt(0)
	s_barrier
	buffer_gl0_inv
	v_cmpx_gt_u32_e32 16, v0
	s_cbranch_execz .LBB38_89
; %bb.88:
	ds_read2_b32 v[2:3], v1 offset1:16
	s_waitcnt lgkmcnt(0)
	v_cmp_lt_f32_e32 vcc_lo, v2, v3
	v_cndmask_b32_e32 v2, v2, v3, vcc_lo
	ds_write_b32 v1, v2
.LBB38_89:
	;; [unrolled: 14-line block ×5, first 2 shown]
	s_or_b32 exec_lo, exec_lo, s0
	v_cmp_eq_u32_e32 vcc_lo, 0, v0
	s_waitcnt lgkmcnt(0)
	s_barrier
	buffer_gl0_inv
	s_and_saveexec_b32 s1, vcc_lo
	s_cbranch_execz .LBB38_97
; %bb.96:
	v_mov_b32_e32 v2, 0
	ds_read_b64 v[0:1], v2
	s_waitcnt lgkmcnt(0)
	v_cmp_lt_f32_e64 s0, v0, v1
	v_cndmask_b32_e64 v0, v0, v1, s0
	ds_write_b32 v2, v0
.LBB38_97:
	s_or_b32 exec_lo, exec_lo, s1
	s_waitcnt lgkmcnt(0)
	s_barrier
	buffer_gl0_inv
	s_and_saveexec_b32 s0, vcc_lo
	s_cbranch_execz .LBB38_101
; %bb.98:
	v_mbcnt_lo_u32_b32 v0, exec_lo, 0
	s_mov_b32 s6, 0
	v_cmp_eq_u32_e32 vcc_lo, 0, v0
	s_and_b32 exec_lo, exec_lo, vcc_lo
	s_cbranch_execz .LBB38_101
; %bb.99:
	s_load_dwordx4 s[0:3], s[4:5], 0x88
	v_mov_b32_e32 v2, 0
	s_waitcnt lgkmcnt(0)
	s_clause 0x1
	global_load_dword v0, v2, s[2:3]
	global_load_dword v1, v2, s[0:1]
	ds_read_b32 v3, v2
	s_waitcnt vmcnt(1) lgkmcnt(0)
	v_div_scale_f32 v4, null, v0, v0, v3
	v_rcp_f32_e32 v5, v4
	v_fma_f32 v6, -v4, v5, 1.0
	v_fmac_f32_e32 v5, v6, v5
	v_div_scale_f32 v6, vcc_lo, v3, v0, v3
	v_mul_f32_e32 v7, v6, v5
	v_fma_f32 v8, -v4, v7, v6
	v_fmac_f32_e32 v7, v8, v5
	v_fma_f32 v4, -v4, v7, v6
	v_div_fmas_f32 v4, v4, v5, v7
	v_div_fixup_f32 v0, v4, v0, v3
	v_max_f32_e32 v3, v0, v0
.LBB38_100:                             ; =>This Inner Loop Header: Depth=1
	s_waitcnt vmcnt(0)
	v_max_f32_e32 v0, v1, v1
	v_max_f32_e32 v0, v0, v3
	global_atomic_cmpswap v0, v2, v[0:1], s[0:1] glc
	s_waitcnt vmcnt(0)
	v_cmp_eq_u32_e32 vcc_lo, v0, v1
	v_mov_b32_e32 v1, v0
	s_or_b32 s6, vcc_lo, s6
	s_andn2_b32 exec_lo, exec_lo, s6
	s_cbranch_execnz .LBB38_100
.LBB38_101:
	s_endpgm
	.section	.rodata,"a",@progbits
	.p2align	6, 0x0
	.amdhsa_kernel _ZN9rocsparseL17kernel_correctionILi1024ELi8E21rocsparse_complex_numIfEiiEEvT3_T2_PKS4_S6_PKS3_PKT1_21rocsparse_index_base_S6_S6_S8_PS9_SC_S6_S6_S8_SD_SC_SD_PNS_15floating_traitsIS9_E6data_tEPKSG_
		.amdhsa_group_segment_fixed_size 512
		.amdhsa_private_segment_fixed_size 0
		.amdhsa_kernarg_size 152
		.amdhsa_user_sgpr_count 6
		.amdhsa_user_sgpr_private_segment_buffer 1
		.amdhsa_user_sgpr_dispatch_ptr 0
		.amdhsa_user_sgpr_queue_ptr 0
		.amdhsa_user_sgpr_kernarg_segment_ptr 1
		.amdhsa_user_sgpr_dispatch_id 0
		.amdhsa_user_sgpr_flat_scratch_init 0
		.amdhsa_user_sgpr_private_segment_size 0
		.amdhsa_wavefront_size32 1
		.amdhsa_uses_dynamic_stack 0
		.amdhsa_system_sgpr_private_segment_wavefront_offset 0
		.amdhsa_system_sgpr_workgroup_id_x 1
		.amdhsa_system_sgpr_workgroup_id_y 0
		.amdhsa_system_sgpr_workgroup_id_z 0
		.amdhsa_system_sgpr_workgroup_info 0
		.amdhsa_system_vgpr_workitem_id 0
		.amdhsa_next_free_vgpr 35
		.amdhsa_next_free_sgpr 52
		.amdhsa_reserve_vcc 1
		.amdhsa_reserve_flat_scratch 0
		.amdhsa_float_round_mode_32 0
		.amdhsa_float_round_mode_16_64 0
		.amdhsa_float_denorm_mode_32 3
		.amdhsa_float_denorm_mode_16_64 3
		.amdhsa_dx10_clamp 1
		.amdhsa_ieee_mode 1
		.amdhsa_fp16_overflow 0
		.amdhsa_workgroup_processor_mode 1
		.amdhsa_memory_ordered 1
		.amdhsa_forward_progress 1
		.amdhsa_shared_vgpr_count 0
		.amdhsa_exception_fp_ieee_invalid_op 0
		.amdhsa_exception_fp_denorm_src 0
		.amdhsa_exception_fp_ieee_div_zero 0
		.amdhsa_exception_fp_ieee_overflow 0
		.amdhsa_exception_fp_ieee_underflow 0
		.amdhsa_exception_fp_ieee_inexact 0
		.amdhsa_exception_int_div_zero 0
	.end_amdhsa_kernel
	.section	.text._ZN9rocsparseL17kernel_correctionILi1024ELi8E21rocsparse_complex_numIfEiiEEvT3_T2_PKS4_S6_PKS3_PKT1_21rocsparse_index_base_S6_S6_S8_PS9_SC_S6_S6_S8_SD_SC_SD_PNS_15floating_traitsIS9_E6data_tEPKSG_,"axG",@progbits,_ZN9rocsparseL17kernel_correctionILi1024ELi8E21rocsparse_complex_numIfEiiEEvT3_T2_PKS4_S6_PKS3_PKT1_21rocsparse_index_base_S6_S6_S8_PS9_SC_S6_S6_S8_SD_SC_SD_PNS_15floating_traitsIS9_E6data_tEPKSG_,comdat
.Lfunc_end38:
	.size	_ZN9rocsparseL17kernel_correctionILi1024ELi8E21rocsparse_complex_numIfEiiEEvT3_T2_PKS4_S6_PKS3_PKT1_21rocsparse_index_base_S6_S6_S8_PS9_SC_S6_S6_S8_SD_SC_SD_PNS_15floating_traitsIS9_E6data_tEPKSG_, .Lfunc_end38-_ZN9rocsparseL17kernel_correctionILi1024ELi8E21rocsparse_complex_numIfEiiEEvT3_T2_PKS4_S6_PKS3_PKT1_21rocsparse_index_base_S6_S6_S8_PS9_SC_S6_S6_S8_SD_SC_SD_PNS_15floating_traitsIS9_E6data_tEPKSG_
                                        ; -- End function
	.set _ZN9rocsparseL17kernel_correctionILi1024ELi8E21rocsparse_complex_numIfEiiEEvT3_T2_PKS4_S6_PKS3_PKT1_21rocsparse_index_base_S6_S6_S8_PS9_SC_S6_S6_S8_SD_SC_SD_PNS_15floating_traitsIS9_E6data_tEPKSG_.num_vgpr, 35
	.set _ZN9rocsparseL17kernel_correctionILi1024ELi8E21rocsparse_complex_numIfEiiEEvT3_T2_PKS4_S6_PKS3_PKT1_21rocsparse_index_base_S6_S6_S8_PS9_SC_S6_S6_S8_SD_SC_SD_PNS_15floating_traitsIS9_E6data_tEPKSG_.num_agpr, 0
	.set _ZN9rocsparseL17kernel_correctionILi1024ELi8E21rocsparse_complex_numIfEiiEEvT3_T2_PKS4_S6_PKS3_PKT1_21rocsparse_index_base_S6_S6_S8_PS9_SC_S6_S6_S8_SD_SC_SD_PNS_15floating_traitsIS9_E6data_tEPKSG_.numbered_sgpr, 52
	.set _ZN9rocsparseL17kernel_correctionILi1024ELi8E21rocsparse_complex_numIfEiiEEvT3_T2_PKS4_S6_PKS3_PKT1_21rocsparse_index_base_S6_S6_S8_PS9_SC_S6_S6_S8_SD_SC_SD_PNS_15floating_traitsIS9_E6data_tEPKSG_.num_named_barrier, 0
	.set _ZN9rocsparseL17kernel_correctionILi1024ELi8E21rocsparse_complex_numIfEiiEEvT3_T2_PKS4_S6_PKS3_PKT1_21rocsparse_index_base_S6_S6_S8_PS9_SC_S6_S6_S8_SD_SC_SD_PNS_15floating_traitsIS9_E6data_tEPKSG_.private_seg_size, 0
	.set _ZN9rocsparseL17kernel_correctionILi1024ELi8E21rocsparse_complex_numIfEiiEEvT3_T2_PKS4_S6_PKS3_PKT1_21rocsparse_index_base_S6_S6_S8_PS9_SC_S6_S6_S8_SD_SC_SD_PNS_15floating_traitsIS9_E6data_tEPKSG_.uses_vcc, 1
	.set _ZN9rocsparseL17kernel_correctionILi1024ELi8E21rocsparse_complex_numIfEiiEEvT3_T2_PKS4_S6_PKS3_PKT1_21rocsparse_index_base_S6_S6_S8_PS9_SC_S6_S6_S8_SD_SC_SD_PNS_15floating_traitsIS9_E6data_tEPKSG_.uses_flat_scratch, 0
	.set _ZN9rocsparseL17kernel_correctionILi1024ELi8E21rocsparse_complex_numIfEiiEEvT3_T2_PKS4_S6_PKS3_PKT1_21rocsparse_index_base_S6_S6_S8_PS9_SC_S6_S6_S8_SD_SC_SD_PNS_15floating_traitsIS9_E6data_tEPKSG_.has_dyn_sized_stack, 0
	.set _ZN9rocsparseL17kernel_correctionILi1024ELi8E21rocsparse_complex_numIfEiiEEvT3_T2_PKS4_S6_PKS3_PKT1_21rocsparse_index_base_S6_S6_S8_PS9_SC_S6_S6_S8_SD_SC_SD_PNS_15floating_traitsIS9_E6data_tEPKSG_.has_recursion, 0
	.set _ZN9rocsparseL17kernel_correctionILi1024ELi8E21rocsparse_complex_numIfEiiEEvT3_T2_PKS4_S6_PKS3_PKT1_21rocsparse_index_base_S6_S6_S8_PS9_SC_S6_S6_S8_SD_SC_SD_PNS_15floating_traitsIS9_E6data_tEPKSG_.has_indirect_call, 0
	.section	.AMDGPU.csdata,"",@progbits
; Kernel info:
; codeLenInByte = 4392
; TotalNumSgprs: 54
; NumVgprs: 35
; ScratchSize: 0
; MemoryBound: 0
; FloatMode: 240
; IeeeMode: 1
; LDSByteSize: 512 bytes/workgroup (compile time only)
; SGPRBlocks: 0
; VGPRBlocks: 4
; NumSGPRsForWavesPerEU: 54
; NumVGPRsForWavesPerEU: 35
; Occupancy: 16
; WaveLimiterHint : 1
; COMPUTE_PGM_RSRC2:SCRATCH_EN: 0
; COMPUTE_PGM_RSRC2:USER_SGPR: 6
; COMPUTE_PGM_RSRC2:TRAP_HANDLER: 0
; COMPUTE_PGM_RSRC2:TGID_X_EN: 1
; COMPUTE_PGM_RSRC2:TGID_Y_EN: 0
; COMPUTE_PGM_RSRC2:TGID_Z_EN: 0
; COMPUTE_PGM_RSRC2:TIDIG_COMP_CNT: 0
	.section	.text._ZN9rocsparseL17kernel_correctionILi1024ELi16E21rocsparse_complex_numIfEiiEEvT3_T2_PKS4_S6_PKS3_PKT1_21rocsparse_index_base_S6_S6_S8_PS9_SC_S6_S6_S8_SD_SC_SD_PNS_15floating_traitsIS9_E6data_tEPKSG_,"axG",@progbits,_ZN9rocsparseL17kernel_correctionILi1024ELi16E21rocsparse_complex_numIfEiiEEvT3_T2_PKS4_S6_PKS3_PKT1_21rocsparse_index_base_S6_S6_S8_PS9_SC_S6_S6_S8_SD_SC_SD_PNS_15floating_traitsIS9_E6data_tEPKSG_,comdat
	.globl	_ZN9rocsparseL17kernel_correctionILi1024ELi16E21rocsparse_complex_numIfEiiEEvT3_T2_PKS4_S6_PKS3_PKT1_21rocsparse_index_base_S6_S6_S8_PS9_SC_S6_S6_S8_SD_SC_SD_PNS_15floating_traitsIS9_E6data_tEPKSG_ ; -- Begin function _ZN9rocsparseL17kernel_correctionILi1024ELi16E21rocsparse_complex_numIfEiiEEvT3_T2_PKS4_S6_PKS3_PKT1_21rocsparse_index_base_S6_S6_S8_PS9_SC_S6_S6_S8_SD_SC_SD_PNS_15floating_traitsIS9_E6data_tEPKSG_
	.p2align	8
	.type	_ZN9rocsparseL17kernel_correctionILi1024ELi16E21rocsparse_complex_numIfEiiEEvT3_T2_PKS4_S6_PKS3_PKT1_21rocsparse_index_base_S6_S6_S8_PS9_SC_S6_S6_S8_SD_SC_SD_PNS_15floating_traitsIS9_E6data_tEPKSG_,@function
_ZN9rocsparseL17kernel_correctionILi1024ELi16E21rocsparse_complex_numIfEiiEEvT3_T2_PKS4_S6_PKS3_PKT1_21rocsparse_index_base_S6_S6_S8_PS9_SC_S6_S6_S8_SD_SC_SD_PNS_15floating_traitsIS9_E6data_tEPKSG_: ; @_ZN9rocsparseL17kernel_correctionILi1024ELi16E21rocsparse_complex_numIfEiiEEvT3_T2_PKS4_S6_PKS3_PKT1_21rocsparse_index_base_S6_S6_S8_PS9_SC_S6_S6_S8_SD_SC_SD_PNS_15floating_traitsIS9_E6data_tEPKSG_
; %bb.0:
	s_load_dword s34, s[4:5], 0x0
	v_lshrrev_b32_e32 v15, 4, v0
	s_lshl_b32 s36, s6, 10
	v_and_b32_e32 v16, 15, v0
	v_mov_b32_e32 v17, 0
	s_mov_b32 s33, exec_lo
	v_or_b32_e32 v1, s36, v15
	s_waitcnt lgkmcnt(0)
	v_cmpx_gt_i32_e64 s34, v1
	s_cbranch_execz .LBB39_81
; %bb.1:
	v_mov_b32_e32 v17, 0
	s_addk_i32 s36, 0x400
	s_mov_b32 s35, exec_lo
	v_cmpx_gt_u32_e64 s36, v1
	s_cbranch_execz .LBB39_80
; %bb.2:
	s_clause 0x6
	s_load_dword s37, s[4:5], 0x28
	s_load_dwordx8 s[8:15], s[4:5], 0x58
	s_load_dwordx8 s[16:23], s[4:5], 0x30
	s_load_dwordx8 s[24:31], s[4:5], 0x8
	s_load_dword s38, s[4:5], 0x50
	s_load_dwordx2 s[6:7], s[4:5], 0x80
	s_load_dword s39, s[4:5], 0x78
	v_mov_b32_e32 v3, 0
	v_mov_b32_e32 v17, 0
	s_mov_b32 s40, 0
	s_waitcnt lgkmcnt(0)
	v_subrev_nc_u32_e32 v18, s37, v16
	s_branch .LBB39_6
.LBB39_3:                               ;   in Loop: Header=BB39_6 Depth=1
	s_or_b32 exec_lo, exec_lo, s43
.LBB39_4:                               ;   in Loop: Header=BB39_6 Depth=1
	s_or_b32 exec_lo, exec_lo, s42
.LBB39_5:                               ;   in Loop: Header=BB39_6 Depth=1
	s_or_b32 exec_lo, exec_lo, s41
	v_add_nc_u32_e32 v1, 64, v1
	v_cmp_le_u32_e32 vcc_lo, s36, v1
	s_or_b32 s40, vcc_lo, s40
	s_andn2_b32 exec_lo, exec_lo, s40
	s_cbranch_execz .LBB39_79
.LBB39_6:                               ; =>This Loop Header: Depth=1
                                        ;     Child Loop BB39_10 Depth 2
                                        ;       Child Loop BB39_14 Depth 3
                                        ;       Child Loop BB39_36 Depth 3
	;; [unrolled: 1-line block ×5, first 2 shown]
	s_mov_b32 s41, exec_lo
	v_cmpx_gt_i32_e64 s34, v1
	s_cbranch_execz .LBB39_5
; %bb.7:                                ;   in Loop: Header=BB39_6 Depth=1
	v_ashrrev_i32_e32 v2, 31, v1
	s_mov_b32 s42, exec_lo
	v_lshlrev_b64 v[5:6], 2, v[1:2]
	v_add_co_u32 v7, vcc_lo, s24, v5
	v_add_co_ci_u32_e64 v8, null, s25, v6, vcc_lo
	v_add_co_u32 v9, vcc_lo, s26, v5
	v_add_co_ci_u32_e64 v10, null, s27, v6, vcc_lo
	global_load_dword v2, v[7:8], off
	global_load_dword v7, v[9:10], off
	s_waitcnt vmcnt(1)
	v_add_nc_u32_e32 v4, v18, v2
	s_waitcnt vmcnt(0)
	v_subrev_nc_u32_e32 v19, s37, v7
	v_cmpx_lt_i32_e64 v4, v19
	s_cbranch_execz .LBB39_4
; %bb.8:                                ;   in Loop: Header=BB39_6 Depth=1
	v_add_co_u32 v7, vcc_lo, s16, v5
	v_add_co_ci_u32_e64 v8, null, s17, v6, vcc_lo
	v_add_co_u32 v5, vcc_lo, s18, v5
	v_add_co_ci_u32_e64 v6, null, s19, v6, vcc_lo
	global_load_dword v2, v[7:8], off
	s_mov_b32 s43, 0
	global_load_dword v5, v[5:6], off
	s_waitcnt vmcnt(1)
	v_subrev_nc_u32_e32 v6, s38, v2
	s_waitcnt vmcnt(0)
	v_sub_nc_u32_e32 v20, v5, v2
	v_ashrrev_i32_e32 v7, 31, v6
	v_cmp_lt_i32_e64 s0, 0, v20
	v_lshlrev_b64 v[8:9], 2, v[6:7]
	v_lshlrev_b64 v[10:11], 3, v[6:7]
	v_add_co_u32 v21, vcc_lo, s20, v8
	v_add_co_ci_u32_e64 v22, null, s21, v9, vcc_lo
	v_add_co_u32 v23, vcc_lo, s22, v10
	v_add_co_ci_u32_e64 v24, null, s23, v11, vcc_lo
	s_branch .LBB39_10
.LBB39_9:                               ;   in Loop: Header=BB39_10 Depth=2
	s_or_b32 exec_lo, exec_lo, s3
	v_add_nc_u32_e32 v4, 16, v4
	v_cmp_nlg_f32_e64 s2, 0x7f800000, |v13|
	v_cmp_gt_f32_e32 vcc_lo, v17, v13
	v_cmp_ge_i32_e64 s1, v4, v19
	s_or_b32 vcc_lo, s2, vcc_lo
	v_cndmask_b32_e32 v17, v13, v17, vcc_lo
	s_or_b32 s43, s1, s43
	s_andn2_b32 exec_lo, exec_lo, s43
	s_cbranch_execz .LBB39_3
.LBB39_10:                              ;   Parent Loop BB39_6 Depth=1
                                        ; =>  This Loop Header: Depth=2
                                        ;       Child Loop BB39_14 Depth 3
                                        ;       Child Loop BB39_36 Depth 3
	;; [unrolled: 1-line block ×5, first 2 shown]
	v_ashrrev_i32_e32 v5, 31, v4
	v_mov_b32_e32 v27, 0
	v_mov_b32_e32 v28, 0
	v_lshlrev_b64 v[7:8], 2, v[4:5]
	v_add_co_u32 v7, vcc_lo, s28, v7
	v_add_co_ci_u32_e64 v8, null, s29, v8, vcc_lo
	global_load_dword v2, v[7:8], off
	s_waitcnt vmcnt(0)
	v_subrev_nc_u32_e32 v7, s37, v2
	v_mov_b32_e32 v2, 0
	v_ashrrev_i32_e32 v8, 31, v7
	v_lshlrev_b64 v[9:10], 2, v[7:8]
	v_add_co_u32 v11, vcc_lo, s8, v9
	v_add_co_ci_u32_e64 v12, null, s9, v10, vcc_lo
	v_add_co_u32 v9, vcc_lo, s10, v9
	v_add_co_ci_u32_e64 v10, null, s11, v10, vcc_lo
	global_load_dword v11, v[11:12], off
	global_load_dword v10, v[9:10], off
	s_waitcnt vmcnt(1)
	v_subrev_nc_u32_e32 v9, s39, v11
	s_waitcnt vmcnt(0)
	v_sub_nc_u32_e32 v25, v10, v11
	v_mov_b32_e32 v10, v2
	s_and_saveexec_b32 s2, s0
	s_cbranch_execz .LBB39_18
; %bb.11:                               ;   in Loop: Header=BB39_10 Depth=2
	v_ashrrev_i32_e32 v10, 31, v9
	v_mov_b32_e32 v27, 0
	v_mov_b32_e32 v2, 0
	;; [unrolled: 1-line block ×3, first 2 shown]
	s_mov_b32 s3, 0
	v_lshlrev_b64 v[12:13], 2, v[9:10]
	v_lshlrev_b64 v[10:11], 3, v[9:10]
                                        ; implicit-def: $sgpr44
	v_add_co_u32 v12, vcc_lo, s12, v12
	v_add_co_ci_u32_e64 v13, null, s13, v13, vcc_lo
	v_add_co_u32 v14, vcc_lo, s14, v10
	v_add_co_ci_u32_e64 v26, null, s15, v11, vcc_lo
	v_mov_b32_e32 v10, 0
	s_branch .LBB39_14
.LBB39_12:                              ;   in Loop: Header=BB39_14 Depth=3
	s_or_b32 exec_lo, exec_lo, s1
	v_cmp_le_i32_e32 vcc_lo, v29, v30
	v_cmp_ge_i32_e64 s1, v29, v30
	v_add_co_ci_u32_e64 v2, null, 0, v2, vcc_lo
	v_add_co_ci_u32_e64 v10, null, 0, v10, s1
	s_andn2_b32 s1, s44, exec_lo
	v_cmp_ge_i32_e32 vcc_lo, v2, v20
	s_and_b32 s44, vcc_lo, exec_lo
	s_or_b32 s44, s1, s44
.LBB39_13:                              ;   in Loop: Header=BB39_14 Depth=3
	s_or_b32 exec_lo, exec_lo, s45
	s_and_b32 s1, exec_lo, s44
	s_or_b32 s3, s1, s3
	s_andn2_b32 exec_lo, exec_lo, s3
	s_cbranch_execz .LBB39_17
.LBB39_14:                              ;   Parent Loop BB39_6 Depth=1
                                        ;     Parent Loop BB39_10 Depth=2
                                        ; =>    This Inner Loop Header: Depth=3
	s_or_b32 s44, s44, exec_lo
	s_mov_b32 s45, exec_lo
	v_cmpx_lt_i32_e64 v10, v25
	s_cbranch_execz .LBB39_13
; %bb.15:                               ;   in Loop: Header=BB39_14 Depth=3
	v_mov_b32_e32 v11, v3
	v_lshlrev_b64 v[29:30], 2, v[2:3]
	s_mov_b32 s1, exec_lo
	v_lshlrev_b64 v[31:32], 2, v[10:11]
	v_add_co_u32 v29, vcc_lo, v21, v29
	v_add_co_ci_u32_e64 v30, null, v22, v30, vcc_lo
	v_add_co_u32 v31, vcc_lo, v12, v31
	v_add_co_ci_u32_e64 v32, null, v13, v32, vcc_lo
	global_load_dword v29, v[29:30], off
	global_load_dword v30, v[31:32], off
	s_waitcnt vmcnt(1)
	v_subrev_nc_u32_e32 v29, s38, v29
	s_waitcnt vmcnt(0)
	v_subrev_nc_u32_e32 v30, s39, v30
	v_cmpx_eq_u32_e64 v29, v30
	s_cbranch_execz .LBB39_12
; %bb.16:                               ;   in Loop: Header=BB39_14 Depth=3
	v_lshlrev_b64 v[31:32], 3, v[2:3]
	v_lshlrev_b64 v[33:34], 3, v[10:11]
	v_add_co_u32 v31, vcc_lo, v23, v31
	v_add_co_ci_u32_e64 v32, null, v24, v32, vcc_lo
	v_add_co_u32 v33, vcc_lo, v14, v33
	v_add_co_ci_u32_e64 v34, null, v26, v34, vcc_lo
	global_load_dwordx2 v[31:32], v[31:32], off
	global_load_dwordx2 v[33:34], v[33:34], off
	s_waitcnt vmcnt(0)
	v_fmac_f32_e32 v27, v31, v33
	v_fmac_f32_e32 v28, v32, v33
	v_fma_f32 v27, -v32, v34, v27
	v_fmac_f32_e32 v28, v31, v34
	s_branch .LBB39_12
.LBB39_17:                              ;   in Loop: Header=BB39_10 Depth=2
	s_or_b32 exec_lo, exec_lo, s3
.LBB39_18:                              ;   in Loop: Header=BB39_10 Depth=2
	s_or_b32 exec_lo, exec_lo, s2
	v_lshlrev_b64 v[11:12], 3, v[4:5]
	v_cmp_le_i32_e64 s2, v1, v7
	s_mov_b32 s1, exec_lo
	v_add_co_u32 v11, vcc_lo, s30, v11
	v_add_co_ci_u32_e64 v12, null, s31, v12, vcc_lo
	global_load_dwordx2 v[11:12], v[11:12], off
	s_waitcnt vmcnt(0)
	v_sub_f32_e32 v26, v11, v27
	v_sub_f32_e32 v5, v12, v28
	v_cmpx_gt_i32_e64 v1, v7
	s_cbranch_execz .LBB39_20
; %bb.19:                               ;   in Loop: Header=BB39_10 Depth=2
	v_lshlrev_b64 v[13:14], 3, v[7:8]
	v_add_co_u32 v13, vcc_lo, s6, v13
	v_add_co_ci_u32_e64 v14, null, s7, v14, vcc_lo
	global_load_dwordx2 v[13:14], v[13:14], off
	s_waitcnt vmcnt(0)
	v_mul_f32_e32 v29, v14, v14
	v_fmac_f32_e32 v29, v13, v13
	v_div_scale_f32 v30, null, v29, v29, 1.0
	v_div_scale_f32 v33, vcc_lo, 1.0, v29, 1.0
	v_rcp_f32_e32 v31, v30
	v_fma_f32 v32, -v30, v31, 1.0
	v_fmac_f32_e32 v31, v32, v31
	v_mul_f32_e32 v32, v33, v31
	v_fma_f32 v34, -v30, v32, v33
	v_fmac_f32_e32 v32, v34, v31
	v_fma_f32 v30, -v30, v32, v33
	v_div_fmas_f32 v30, v30, v31, v32
	v_mul_f32_e32 v31, v5, v14
	v_mul_f32_e64 v14, v14, -v26
	v_div_fixup_f32 v29, v30, v29, 1.0
	v_fmac_f32_e32 v31, v26, v13
	v_fmac_f32_e32 v14, v5, v13
	v_mul_f32_e32 v26, v31, v29
	v_mul_f32_e32 v5, v14, v29
.LBB39_20:                              ;   in Loop: Header=BB39_10 Depth=2
	s_or_b32 exec_lo, exec_lo, s1
	v_cmp_lt_i32_e64 s1, v10, v25
	s_mov_b32 s3, exec_lo
	v_cmpx_ge_i32_e64 v10, v25
	s_xor_b32 s3, exec_lo, s3
	s_cbranch_execnz .LBB39_33
; %bb.21:                               ;   in Loop: Header=BB39_10 Depth=2
	s_andn2_saveexec_b32 s3, s3
	s_cbranch_execnz .LBB39_49
.LBB39_22:                              ;   in Loop: Header=BB39_10 Depth=2
	s_or_b32 exec_lo, exec_lo, s3
	s_mov_b32 s3, exec_lo
	v_cmpx_eq_u32_e64 v1, v7
	s_cbranch_execz .LBB39_24
.LBB39_23:                              ;   in Loop: Header=BB39_10 Depth=2
	v_lshlrev_b64 v[13:14], 3, v[7:8]
	v_add_co_u32 v13, vcc_lo, s6, v13
	v_add_co_ci_u32_e64 v14, null, s7, v14, vcc_lo
	global_load_dwordx2 v[13:14], v[13:14], off
	s_waitcnt vmcnt(0)
	v_add_f32_e32 v27, v27, v13
	v_add_f32_e32 v28, v28, v14
.LBB39_24:                              ;   in Loop: Header=BB39_10 Depth=2
	s_or_b32 exec_lo, exec_lo, s3
	v_sub_f32_e32 v11, v11, v27
	v_sub_f32_e32 v14, v12, v28
                                        ; implicit-def: $vgpr13
	s_mov_b32 s3, exec_lo
	v_cmp_gt_f32_e32 vcc_lo, 0, v11
	v_cndmask_b32_e64 v11, v11, -v11, vcc_lo
	v_cmp_gt_f32_e32 vcc_lo, 0, v14
	v_cndmask_b32_e64 v12, v14, -v14, vcc_lo
	v_cmpx_ngt_f32_e32 v11, v12
	s_xor_b32 s44, exec_lo, s3
	s_cbranch_execz .LBB39_28
; %bb.25:                               ;   in Loop: Header=BB39_10 Depth=2
	v_mov_b32_e32 v13, 0
	s_mov_b32 s45, exec_lo
	v_cmpx_neq_f32_e32 0, v14
	s_cbranch_execz .LBB39_27
; %bb.26:                               ;   in Loop: Header=BB39_10 Depth=2
	v_div_scale_f32 v13, null, v12, v12, v11
	v_div_scale_f32 v28, vcc_lo, v11, v12, v11
	v_rcp_f32_e32 v14, v13
	v_fma_f32 v27, -v13, v14, 1.0
	v_fmac_f32_e32 v14, v27, v14
	v_mul_f32_e32 v27, v28, v14
	v_fma_f32 v29, -v13, v27, v28
	v_fmac_f32_e32 v27, v29, v14
	v_fma_f32 v13, -v13, v27, v28
	v_div_fmas_f32 v13, v13, v14, v27
	v_div_fixup_f32 v11, v13, v12, v11
	v_fma_f32 v11, v11, v11, 1.0
	v_mul_f32_e32 v13, 0x4f800000, v11
	v_cmp_gt_f32_e32 vcc_lo, 0xf800000, v11
	v_cndmask_b32_e32 v11, v11, v13, vcc_lo
	v_sqrt_f32_e32 v13, v11
	v_add_nc_u32_e32 v14, -1, v13
	v_add_nc_u32_e32 v27, 1, v13
	v_fma_f32 v28, -v14, v13, v11
	v_fma_f32 v29, -v27, v13, v11
	v_cmp_ge_f32_e64 s3, 0, v28
	v_cndmask_b32_e64 v13, v13, v14, s3
	v_cmp_lt_f32_e64 s3, 0, v29
	v_cndmask_b32_e64 v13, v13, v27, s3
	v_mul_f32_e32 v14, 0x37800000, v13
	v_cndmask_b32_e32 v13, v13, v14, vcc_lo
	v_cmp_class_f32_e64 vcc_lo, v11, 0x260
	v_cndmask_b32_e32 v11, v13, v11, vcc_lo
	v_mul_f32_e32 v13, v12, v11
.LBB39_27:                              ;   in Loop: Header=BB39_10 Depth=2
	s_or_b32 exec_lo, exec_lo, s45
                                        ; implicit-def: $vgpr11
                                        ; implicit-def: $vgpr12
.LBB39_28:                              ;   in Loop: Header=BB39_10 Depth=2
	s_andn2_saveexec_b32 s44, s44
	s_cbranch_execz .LBB39_30
; %bb.29:                               ;   in Loop: Header=BB39_10 Depth=2
	v_div_scale_f32 v13, null, v11, v11, v12
	v_div_scale_f32 v28, vcc_lo, v12, v11, v12
	v_rcp_f32_e32 v14, v13
	v_fma_f32 v27, -v13, v14, 1.0
	v_fmac_f32_e32 v14, v27, v14
	v_mul_f32_e32 v27, v28, v14
	v_fma_f32 v29, -v13, v27, v28
	v_fmac_f32_e32 v27, v29, v14
	v_fma_f32 v13, -v13, v27, v28
	v_div_fmas_f32 v13, v13, v14, v27
	v_div_fixup_f32 v12, v13, v11, v12
	v_fma_f32 v12, v12, v12, 1.0
	v_mul_f32_e32 v13, 0x4f800000, v12
	v_cmp_gt_f32_e32 vcc_lo, 0xf800000, v12
	v_cndmask_b32_e32 v12, v12, v13, vcc_lo
	v_sqrt_f32_e32 v13, v12
	v_add_nc_u32_e32 v14, -1, v13
	v_add_nc_u32_e32 v27, 1, v13
	v_fma_f32 v28, -v14, v13, v12
	v_fma_f32 v29, -v27, v13, v12
	v_cmp_ge_f32_e64 s3, 0, v28
	v_cndmask_b32_e64 v13, v13, v14, s3
	v_cmp_lt_f32_e64 s3, 0, v29
	v_cndmask_b32_e64 v13, v13, v27, s3
	v_mul_f32_e32 v14, 0x37800000, v13
	v_cndmask_b32_e32 v13, v13, v14, vcc_lo
	v_cmp_class_f32_e64 vcc_lo, v12, 0x260
	v_cndmask_b32_e32 v12, v13, v12, vcc_lo
	v_mul_f32_e32 v13, v11, v12
.LBB39_30:                              ;   in Loop: Header=BB39_10 Depth=2
	s_or_b32 exec_lo, exec_lo, s44
	v_cmp_gt_f32_e32 vcc_lo, 0, v26
                                        ; implicit-def: $vgpr14
	s_mov_b32 s3, exec_lo
	v_cndmask_b32_e64 v11, v26, -v26, vcc_lo
	v_cmp_gt_f32_e32 vcc_lo, 0, v5
	v_cndmask_b32_e64 v12, v5, -v5, vcc_lo
	v_cmpx_ngt_f32_e32 v11, v12
	s_xor_b32 s44, exec_lo, s3
	s_cbranch_execnz .LBB39_38
; %bb.31:                               ;   in Loop: Header=BB39_10 Depth=2
	s_andn2_saveexec_b32 s44, s44
	s_cbranch_execnz .LBB39_41
.LBB39_32:                              ;   in Loop: Header=BB39_10 Depth=2
	s_or_b32 exec_lo, exec_lo, s44
	v_cmp_class_f32_e64 s44, v14, 0x1f8
	s_and_saveexec_b32 s3, s44
	s_cbranch_execz .LBB39_9
	s_branch .LBB39_42
.LBB39_33:                              ;   in Loop: Header=BB39_10 Depth=2
	s_mov_b32 s44, exec_lo
	v_cmpx_lt_i32_e64 v2, v20
	s_cbranch_execz .LBB39_48
; %bb.34:                               ;   in Loop: Header=BB39_10 Depth=2
	v_mov_b32_e32 v29, v2
	s_mov_b32 s46, 0
                                        ; implicit-def: $sgpr45
                                        ; implicit-def: $sgpr48
                                        ; implicit-def: $sgpr47
	s_inst_prefetch 0x1
	s_branch .LBB39_36
	.p2align	6
.LBB39_35:                              ;   in Loop: Header=BB39_36 Depth=3
	s_or_b32 exec_lo, exec_lo, s49
	s_and_b32 s49, exec_lo, s48
	s_or_b32 s46, s49, s46
	s_andn2_b32 s45, s45, exec_lo
	s_and_b32 s49, s47, exec_lo
	s_or_b32 s45, s45, s49
	s_andn2_b32 exec_lo, exec_lo, s46
	s_cbranch_execz .LBB39_45
.LBB39_36:                              ;   Parent Loop BB39_6 Depth=1
                                        ;     Parent Loop BB39_10 Depth=2
                                        ; =>    This Inner Loop Header: Depth=3
	v_add_nc_u32_e32 v13, v6, v29
	s_or_b32 s47, s47, exec_lo
	s_or_b32 s48, s48, exec_lo
	s_mov_b32 s49, exec_lo
	v_ashrrev_i32_e32 v14, 31, v13
	v_lshlrev_b64 v[30:31], 2, v[13:14]
	v_add_co_u32 v30, vcc_lo, s20, v30
	v_add_co_ci_u32_e64 v31, null, s21, v31, vcc_lo
	global_load_dword v30, v[30:31], off
	s_waitcnt vmcnt(0)
	v_subrev_nc_u32_e32 v30, s38, v30
	v_cmpx_ne_u32_e64 v30, v7
	s_cbranch_execz .LBB39_35
; %bb.37:                               ;   in Loop: Header=BB39_36 Depth=3
	v_add_nc_u32_e32 v29, 1, v29
	s_andn2_b32 s48, s48, exec_lo
	s_andn2_b32 s47, s47, exec_lo
	v_cmp_ge_i32_e32 vcc_lo, v29, v20
	s_and_b32 s50, vcc_lo, exec_lo
	s_or_b32 s48, s48, s50
	s_branch .LBB39_35
.LBB39_38:                              ;   in Loop: Header=BB39_10 Depth=2
	v_mov_b32_e32 v14, 0
	s_mov_b32 s45, exec_lo
	v_cmpx_neq_f32_e32 0, v5
	s_cbranch_execz .LBB39_40
; %bb.39:                               ;   in Loop: Header=BB39_10 Depth=2
	v_div_scale_f32 v14, null, v12, v12, v11
	v_div_scale_f32 v29, vcc_lo, v11, v12, v11
	v_rcp_f32_e32 v27, v14
	v_fma_f32 v28, -v14, v27, 1.0
	v_fmac_f32_e32 v27, v28, v27
	v_mul_f32_e32 v28, v29, v27
	v_fma_f32 v30, -v14, v28, v29
	v_fmac_f32_e32 v28, v30, v27
	v_fma_f32 v14, -v14, v28, v29
	v_div_fmas_f32 v14, v14, v27, v28
	v_div_fixup_f32 v11, v14, v12, v11
	v_fma_f32 v11, v11, v11, 1.0
	v_mul_f32_e32 v14, 0x4f800000, v11
	v_cmp_gt_f32_e32 vcc_lo, 0xf800000, v11
	v_cndmask_b32_e32 v11, v11, v14, vcc_lo
	v_sqrt_f32_e32 v14, v11
	v_add_nc_u32_e32 v27, -1, v14
	v_add_nc_u32_e32 v28, 1, v14
	v_fma_f32 v29, -v27, v14, v11
	v_fma_f32 v30, -v28, v14, v11
	v_cmp_ge_f32_e64 s3, 0, v29
	v_cndmask_b32_e64 v14, v14, v27, s3
	v_cmp_lt_f32_e64 s3, 0, v30
	v_cndmask_b32_e64 v14, v14, v28, s3
	v_mul_f32_e32 v27, 0x37800000, v14
	v_cndmask_b32_e32 v14, v14, v27, vcc_lo
	v_cmp_class_f32_e64 vcc_lo, v11, 0x260
	v_cndmask_b32_e32 v11, v14, v11, vcc_lo
	v_mul_f32_e32 v14, v12, v11
.LBB39_40:                              ;   in Loop: Header=BB39_10 Depth=2
	s_or_b32 exec_lo, exec_lo, s45
                                        ; implicit-def: $vgpr11
                                        ; implicit-def: $vgpr12
	s_andn2_saveexec_b32 s44, s44
	s_cbranch_execz .LBB39_32
.LBB39_41:                              ;   in Loop: Header=BB39_10 Depth=2
	v_div_scale_f32 v14, null, v11, v11, v12
	v_div_scale_f32 v29, vcc_lo, v12, v11, v12
	v_rcp_f32_e32 v27, v14
	v_fma_f32 v28, -v14, v27, 1.0
	v_fmac_f32_e32 v27, v28, v27
	v_mul_f32_e32 v28, v29, v27
	v_fma_f32 v30, -v14, v28, v29
	v_fmac_f32_e32 v28, v30, v27
	v_fma_f32 v14, -v14, v28, v29
	v_div_fmas_f32 v14, v14, v27, v28
	v_div_fixup_f32 v12, v14, v11, v12
	v_fma_f32 v12, v12, v12, 1.0
	v_mul_f32_e32 v14, 0x4f800000, v12
	v_cmp_gt_f32_e32 vcc_lo, 0xf800000, v12
	v_cndmask_b32_e32 v12, v12, v14, vcc_lo
	v_sqrt_f32_e32 v14, v12
	v_add_nc_u32_e32 v27, -1, v14
	v_add_nc_u32_e32 v28, 1, v14
	v_fma_f32 v29, -v27, v14, v12
	v_fma_f32 v30, -v28, v14, v12
	v_cmp_ge_f32_e64 s3, 0, v29
	v_cndmask_b32_e64 v14, v14, v27, s3
	v_cmp_lt_f32_e64 s3, 0, v30
	v_cndmask_b32_e64 v14, v14, v28, s3
	v_mul_f32_e32 v27, 0x37800000, v14
	v_cndmask_b32_e32 v14, v14, v27, vcc_lo
	v_cmp_class_f32_e64 vcc_lo, v12, 0x260
	v_cndmask_b32_e32 v12, v14, v12, vcc_lo
	v_mul_f32_e32 v14, v11, v12
	s_or_b32 exec_lo, exec_lo, s44
	v_cmp_class_f32_e64 s44, v14, 0x1f8
	s_and_saveexec_b32 s3, s44
	s_cbranch_execz .LBB39_9
.LBB39_42:                              ;   in Loop: Header=BB39_10 Depth=2
	s_mov_b32 s44, 0
                                        ; implicit-def: $vgpr11_vgpr12
	s_and_saveexec_b32 s45, s2
	s_xor_b32 s2, exec_lo, s45
	s_cbranch_execnz .LBB39_56
; %bb.43:                               ;   in Loop: Header=BB39_10 Depth=2
	s_andn2_saveexec_b32 s1, s2
	s_cbranch_execnz .LBB39_69
.LBB39_44:                              ;   in Loop: Header=BB39_10 Depth=2
	s_or_b32 exec_lo, exec_lo, s1
	s_and_b32 exec_lo, exec_lo, s44
	s_cbranch_execz .LBB39_9
	s_branch .LBB39_78
.LBB39_45:                              ;   in Loop: Header=BB39_10 Depth=2
	s_inst_prefetch 0x2
	s_or_b32 exec_lo, exec_lo, s46
	s_and_saveexec_b32 s46, s45
	s_xor_b32 s45, exec_lo, s46
	s_cbranch_execz .LBB39_47
; %bb.46:                               ;   in Loop: Header=BB39_10 Depth=2
	v_lshlrev_b64 v[13:14], 3, v[13:14]
	v_lshlrev_b64 v[29:30], 3, v[7:8]
	v_add_co_u32 v13, vcc_lo, s22, v13
	v_add_co_ci_u32_e64 v14, null, s23, v14, vcc_lo
	v_add_co_u32 v29, vcc_lo, s6, v29
	v_add_co_ci_u32_e64 v30, null, s7, v30, vcc_lo
	global_load_dwordx2 v[13:14], v[13:14], off
	global_load_dwordx2 v[29:30], v[29:30], off
	s_waitcnt vmcnt(0)
	v_mul_f32_e64 v31, v30, -v14
	v_mul_f32_e32 v30, v30, v13
	v_fmac_f32_e32 v31, v13, v29
	v_fmac_f32_e32 v30, v14, v29
	v_add_f32_e32 v27, v27, v31
	v_add_f32_e32 v28, v28, v30
.LBB39_47:                              ;   in Loop: Header=BB39_10 Depth=2
	s_or_b32 exec_lo, exec_lo, s45
.LBB39_48:                              ;   in Loop: Header=BB39_10 Depth=2
	s_or_b32 exec_lo, exec_lo, s44
	s_andn2_saveexec_b32 s3, s3
	s_cbranch_execz .LBB39_22
.LBB39_49:                              ;   in Loop: Header=BB39_10 Depth=2
	v_mov_b32_e32 v29, v10
	s_mov_b32 s45, 0
                                        ; implicit-def: $sgpr44
                                        ; implicit-def: $sgpr47
                                        ; implicit-def: $sgpr46
	s_inst_prefetch 0x1
	s_branch .LBB39_51
	.p2align	6
.LBB39_50:                              ;   in Loop: Header=BB39_51 Depth=3
	s_or_b32 exec_lo, exec_lo, s48
	s_and_b32 s48, exec_lo, s47
	s_or_b32 s45, s48, s45
	s_andn2_b32 s44, s44, exec_lo
	s_and_b32 s48, s46, exec_lo
	s_or_b32 s44, s44, s48
	s_andn2_b32 exec_lo, exec_lo, s45
	s_cbranch_execz .LBB39_53
.LBB39_51:                              ;   Parent Loop BB39_6 Depth=1
                                        ;     Parent Loop BB39_10 Depth=2
                                        ; =>    This Inner Loop Header: Depth=3
	v_add_nc_u32_e32 v13, v9, v29
	s_or_b32 s46, s46, exec_lo
	s_or_b32 s47, s47, exec_lo
	s_mov_b32 s48, exec_lo
	v_ashrrev_i32_e32 v14, 31, v13
	v_lshlrev_b64 v[30:31], 2, v[13:14]
	v_add_co_u32 v30, vcc_lo, s12, v30
	v_add_co_ci_u32_e64 v31, null, s13, v31, vcc_lo
	global_load_dword v30, v[30:31], off
	s_waitcnt vmcnt(0)
	v_subrev_nc_u32_e32 v30, s39, v30
	v_cmpx_ne_u32_e64 v30, v1
	s_cbranch_execz .LBB39_50
; %bb.52:                               ;   in Loop: Header=BB39_51 Depth=3
	v_add_nc_u32_e32 v29, 1, v29
	s_andn2_b32 s47, s47, exec_lo
	s_andn2_b32 s46, s46, exec_lo
	v_cmp_ge_i32_e32 vcc_lo, v29, v25
	s_and_b32 s49, vcc_lo, exec_lo
	s_or_b32 s47, s47, s49
	s_branch .LBB39_50
.LBB39_53:                              ;   in Loop: Header=BB39_10 Depth=2
	s_inst_prefetch 0x2
	s_or_b32 exec_lo, exec_lo, s45
	s_and_saveexec_b32 s45, s44
	s_xor_b32 s44, exec_lo, s45
	s_cbranch_execz .LBB39_55
; %bb.54:                               ;   in Loop: Header=BB39_10 Depth=2
	v_lshlrev_b64 v[13:14], 3, v[13:14]
	v_add_co_u32 v13, vcc_lo, s14, v13
	v_add_co_ci_u32_e64 v14, null, s15, v14, vcc_lo
	global_load_dwordx2 v[13:14], v[13:14], off
	s_waitcnt vmcnt(0)
	v_add_f32_e32 v27, v27, v13
	v_add_f32_e32 v28, v28, v14
.LBB39_55:                              ;   in Loop: Header=BB39_10 Depth=2
	s_or_b32 exec_lo, exec_lo, s44
	s_or_b32 exec_lo, exec_lo, s3
	s_mov_b32 s3, exec_lo
	v_cmpx_eq_u32_e64 v1, v7
	s_cbranch_execnz .LBB39_23
	s_branch .LBB39_24
.LBB39_56:                              ;   in Loop: Header=BB39_10 Depth=2
	s_mov_b32 s45, exec_lo
                                        ; implicit-def: $vgpr11_vgpr12
	v_cmpx_ge_i32_e64 v1, v7
	s_xor_b32 s45, exec_lo, s45
	s_cbranch_execz .LBB39_58
; %bb.57:                               ;   in Loop: Header=BB39_10 Depth=2
	v_lshlrev_b64 v[7:8], 3, v[7:8]
	s_mov_b32 s44, exec_lo
                                        ; implicit-def: $vgpr10
                                        ; implicit-def: $vgpr9
                                        ; implicit-def: $vgpr25
	v_add_co_u32 v11, vcc_lo, s6, v7
	v_add_co_ci_u32_e64 v12, null, s7, v8, vcc_lo
	global_store_dword v[11:12], v26, off
                                        ; implicit-def: $vgpr26
.LBB39_58:                              ;   in Loop: Header=BB39_10 Depth=2
	s_andn2_saveexec_b32 s45, s45
	s_cbranch_execz .LBB39_68
; %bb.59:                               ;   in Loop: Header=BB39_10 Depth=2
	s_mov_b32 s47, s44
                                        ; implicit-def: $vgpr11_vgpr12
	s_and_saveexec_b32 s46, s1
	s_cbranch_execz .LBB39_67
; %bb.60:                               ;   in Loop: Header=BB39_10 Depth=2
	s_mov_b32 s47, 0
                                        ; implicit-def: $sgpr1
                                        ; implicit-def: $sgpr49
                                        ; implicit-def: $sgpr48
	s_inst_prefetch 0x1
	s_branch .LBB39_62
	.p2align	6
.LBB39_61:                              ;   in Loop: Header=BB39_62 Depth=3
	s_or_b32 exec_lo, exec_lo, s50
	s_and_b32 s50, exec_lo, s49
	s_or_b32 s47, s50, s47
	s_andn2_b32 s1, s1, exec_lo
	s_and_b32 s50, s48, exec_lo
	s_or_b32 s1, s1, s50
	s_andn2_b32 exec_lo, exec_lo, s47
	s_cbranch_execz .LBB39_64
.LBB39_62:                              ;   Parent Loop BB39_6 Depth=1
                                        ;     Parent Loop BB39_10 Depth=2
                                        ; =>    This Inner Loop Header: Depth=3
	v_add_nc_u32_e32 v7, v9, v10
	s_or_b32 s48, s48, exec_lo
	s_or_b32 s49, s49, exec_lo
	s_mov_b32 s50, exec_lo
	v_ashrrev_i32_e32 v8, 31, v7
	v_lshlrev_b64 v[11:12], 2, v[7:8]
	v_add_co_u32 v11, vcc_lo, s12, v11
	v_add_co_ci_u32_e64 v12, null, s13, v12, vcc_lo
	global_load_dword v2, v[11:12], off
	s_waitcnt vmcnt(0)
	v_subrev_nc_u32_e32 v2, s39, v2
	v_cmpx_ne_u32_e64 v2, v1
	s_cbranch_execz .LBB39_61
; %bb.63:                               ;   in Loop: Header=BB39_62 Depth=3
	v_add_nc_u32_e32 v10, 1, v10
	s_andn2_b32 s49, s49, exec_lo
	s_andn2_b32 s48, s48, exec_lo
	v_cmp_ge_i32_e32 vcc_lo, v10, v25
	s_and_b32 s51, vcc_lo, exec_lo
	s_or_b32 s49, s49, s51
	s_branch .LBB39_61
.LBB39_64:                              ;   in Loop: Header=BB39_10 Depth=2
	s_inst_prefetch 0x2
	s_or_b32 exec_lo, exec_lo, s47
	s_mov_b32 s47, s44
                                        ; implicit-def: $vgpr11_vgpr12
	s_and_saveexec_b32 s48, s1
	s_xor_b32 s1, exec_lo, s48
	s_cbranch_execz .LBB39_66
; %bb.65:                               ;   in Loop: Header=BB39_10 Depth=2
	v_lshlrev_b64 v[7:8], 3, v[7:8]
	s_or_b32 s47, s44, exec_lo
	v_add_co_u32 v11, vcc_lo, s14, v7
	v_add_co_ci_u32_e64 v12, null, s15, v8, vcc_lo
	global_store_dword v[11:12], v26, off
.LBB39_66:                              ;   in Loop: Header=BB39_10 Depth=2
	s_or_b32 exec_lo, exec_lo, s1
	s_andn2_b32 s1, s44, exec_lo
	s_and_b32 s47, s47, exec_lo
	s_or_b32 s47, s1, s47
.LBB39_67:                              ;   in Loop: Header=BB39_10 Depth=2
	s_or_b32 exec_lo, exec_lo, s46
	s_andn2_b32 s1, s44, exec_lo
	s_and_b32 s44, s47, exec_lo
	s_or_b32 s44, s1, s44
.LBB39_68:                              ;   in Loop: Header=BB39_10 Depth=2
	s_or_b32 exec_lo, exec_lo, s45
	s_and_b32 s44, s44, exec_lo
                                        ; implicit-def: $vgpr26
                                        ; implicit-def: $vgpr7_vgpr8
	s_andn2_saveexec_b32 s1, s2
	s_cbranch_execz .LBB39_44
.LBB39_69:                              ;   in Loop: Header=BB39_10 Depth=2
	s_mov_b32 s45, s44
	s_mov_b32 s2, exec_lo
                                        ; implicit-def: $vgpr11_vgpr12
	v_cmpx_lt_i32_e64 v2, v20
	s_cbranch_execz .LBB39_77
; %bb.70:                               ;   in Loop: Header=BB39_10 Depth=2
	s_mov_b32 s46, 0
                                        ; implicit-def: $sgpr45
                                        ; implicit-def: $sgpr48
                                        ; implicit-def: $sgpr47
	s_inst_prefetch 0x1
	s_branch .LBB39_72
	.p2align	6
.LBB39_71:                              ;   in Loop: Header=BB39_72 Depth=3
	s_or_b32 exec_lo, exec_lo, s49
	s_and_b32 s49, exec_lo, s48
	s_or_b32 s46, s49, s46
	s_andn2_b32 s45, s45, exec_lo
	s_and_b32 s49, s47, exec_lo
	s_or_b32 s45, s45, s49
	s_andn2_b32 exec_lo, exec_lo, s46
	s_cbranch_execz .LBB39_74
.LBB39_72:                              ;   Parent Loop BB39_6 Depth=1
                                        ;     Parent Loop BB39_10 Depth=2
                                        ; =>    This Inner Loop Header: Depth=3
	v_add_nc_u32_e32 v8, v6, v2
	s_or_b32 s47, s47, exec_lo
	s_or_b32 s48, s48, exec_lo
	s_mov_b32 s49, exec_lo
	v_ashrrev_i32_e32 v9, 31, v8
	v_lshlrev_b64 v[10:11], 2, v[8:9]
	v_add_co_u32 v10, vcc_lo, s20, v10
	v_add_co_ci_u32_e64 v11, null, s21, v11, vcc_lo
	global_load_dword v10, v[10:11], off
	s_waitcnt vmcnt(0)
	v_subrev_nc_u32_e32 v10, s38, v10
	v_cmpx_ne_u32_e64 v10, v7
	s_cbranch_execz .LBB39_71
; %bb.73:                               ;   in Loop: Header=BB39_72 Depth=3
	v_add_nc_u32_e32 v2, 1, v2
	s_andn2_b32 s48, s48, exec_lo
	s_andn2_b32 s47, s47, exec_lo
	v_cmp_ge_i32_e32 vcc_lo, v2, v20
	s_and_b32 s50, vcc_lo, exec_lo
	s_or_b32 s48, s48, s50
	s_branch .LBB39_71
.LBB39_74:                              ;   in Loop: Header=BB39_10 Depth=2
	s_inst_prefetch 0x2
	s_or_b32 exec_lo, exec_lo, s46
	s_mov_b32 s46, s44
                                        ; implicit-def: $vgpr11_vgpr12
	s_and_saveexec_b32 s47, s45
	s_xor_b32 s45, exec_lo, s47
	s_cbranch_execz .LBB39_76
; %bb.75:                               ;   in Loop: Header=BB39_10 Depth=2
	v_lshlrev_b64 v[7:8], 3, v[8:9]
	s_or_b32 s46, s44, exec_lo
	v_add_co_u32 v11, vcc_lo, s22, v7
	v_add_co_ci_u32_e64 v12, null, s23, v8, vcc_lo
	global_store_dword v[11:12], v26, off
.LBB39_76:                              ;   in Loop: Header=BB39_10 Depth=2
	s_or_b32 exec_lo, exec_lo, s45
	s_andn2_b32 s45, s44, exec_lo
	s_and_b32 s46, s46, exec_lo
	s_or_b32 s45, s45, s46
.LBB39_77:                              ;   in Loop: Header=BB39_10 Depth=2
	s_or_b32 exec_lo, exec_lo, s2
	s_andn2_b32 s2, s44, exec_lo
	s_and_b32 s44, s45, exec_lo
	s_or_b32 s44, s2, s44
	s_or_b32 exec_lo, exec_lo, s1
	s_and_b32 exec_lo, exec_lo, s44
	s_cbranch_execz .LBB39_9
.LBB39_78:                              ;   in Loop: Header=BB39_10 Depth=2
	global_store_dword v[11:12], v5, off offset:4
	s_branch .LBB39_9
.LBB39_79:
	s_or_b32 exec_lo, exec_lo, s40
.LBB39_80:
	s_or_b32 exec_lo, exec_lo, s35
.LBB39_81:
	s_or_b32 exec_lo, exec_lo, s33
	v_mbcnt_lo_u32_b32 v1, -1, 0
	s_mov_b32 s0, exec_lo
	v_xor_b32_e32 v2, 8, v1
	v_xor_b32_e32 v3, 4, v1
	;; [unrolled: 1-line block ×3, first 2 shown]
	v_cmp_gt_i32_e32 vcc_lo, 32, v2
	v_cndmask_b32_e32 v2, v1, v2, vcc_lo
	v_cmp_gt_i32_e32 vcc_lo, 32, v3
	v_lshlrev_b32_e32 v2, 2, v2
	v_cndmask_b32_e32 v3, v1, v3, vcc_lo
	ds_bpermute_b32 v2, v2, v17
	v_lshlrev_b32_e32 v3, 2, v3
	s_waitcnt lgkmcnt(0)
	v_cmp_lt_f32_e32 vcc_lo, v17, v2
	v_cndmask_b32_e32 v2, v17, v2, vcc_lo
	v_cmp_gt_i32_e32 vcc_lo, 32, v4
	ds_bpermute_b32 v3, v3, v2
	v_cndmask_b32_e32 v4, v1, v4, vcc_lo
	v_lshlrev_b32_e32 v4, 2, v4
	s_waitcnt lgkmcnt(0)
	v_cmp_lt_f32_e32 vcc_lo, v2, v3
	v_cndmask_b32_e32 v2, v2, v3, vcc_lo
	ds_bpermute_b32 v3, v4, v2
	v_xor_b32_e32 v4, 1, v1
	v_cmp_gt_i32_e32 vcc_lo, 32, v4
	v_cndmask_b32_e32 v4, v1, v4, vcc_lo
	s_waitcnt lgkmcnt(0)
	v_cmp_lt_f32_e32 vcc_lo, v2, v3
	v_cndmask_b32_e32 v1, v2, v3, vcc_lo
	v_lshlrev_b32_e32 v2, 2, v4
	ds_bpermute_b32 v2, v2, v1
	v_cmpx_eq_u32_e32 15, v16
	s_cbranch_execz .LBB39_83
; %bb.82:
	s_waitcnt lgkmcnt(0)
	v_cmp_lt_f32_e32 vcc_lo, v1, v2
	v_lshlrev_b32_e32 v3, 2, v15
	v_cndmask_b32_e32 v1, v1, v2, vcc_lo
	ds_write_b32 v3, v1
.LBB39_83:
	s_or_b32 exec_lo, exec_lo, s0
	v_lshlrev_b32_e32 v1, 2, v0
	s_mov_b32 s0, exec_lo
	s_waitcnt lgkmcnt(0)
	s_waitcnt_vscnt null, 0x0
	s_barrier
	buffer_gl0_inv
	v_cmpx_gt_u32_e32 32, v0
	s_cbranch_execz .LBB39_85
; %bb.84:
	ds_read2_b32 v[2:3], v1 offset1:32
	s_waitcnt lgkmcnt(0)
	v_cmp_lt_f32_e32 vcc_lo, v2, v3
	v_cndmask_b32_e32 v2, v2, v3, vcc_lo
	ds_write_b32 v1, v2
.LBB39_85:
	s_or_b32 exec_lo, exec_lo, s0
	s_mov_b32 s0, exec_lo
	s_waitcnt lgkmcnt(0)
	s_barrier
	buffer_gl0_inv
	v_cmpx_gt_u32_e32 16, v0
	s_cbranch_execz .LBB39_87
; %bb.86:
	ds_read2_b32 v[2:3], v1 offset1:16
	s_waitcnt lgkmcnt(0)
	v_cmp_lt_f32_e32 vcc_lo, v2, v3
	v_cndmask_b32_e32 v2, v2, v3, vcc_lo
	ds_write_b32 v1, v2
.LBB39_87:
	s_or_b32 exec_lo, exec_lo, s0
	s_mov_b32 s0, exec_lo
	s_waitcnt lgkmcnt(0)
	;; [unrolled: 14-line block ×4, first 2 shown]
	s_barrier
	buffer_gl0_inv
	v_cmpx_gt_u32_e32 2, v0
	s_cbranch_execz .LBB39_93
; %bb.92:
	ds_read2_b32 v[2:3], v1 offset1:2
	s_waitcnt lgkmcnt(0)
	v_cmp_lt_f32_e32 vcc_lo, v2, v3
	v_cndmask_b32_e32 v2, v2, v3, vcc_lo
	ds_write_b32 v1, v2
.LBB39_93:
	s_or_b32 exec_lo, exec_lo, s0
	v_cmp_eq_u32_e32 vcc_lo, 0, v0
	s_waitcnt lgkmcnt(0)
	s_barrier
	buffer_gl0_inv
	s_and_saveexec_b32 s1, vcc_lo
	s_cbranch_execz .LBB39_95
; %bb.94:
	v_mov_b32_e32 v2, 0
	ds_read_b64 v[0:1], v2
	s_waitcnt lgkmcnt(0)
	v_cmp_lt_f32_e64 s0, v0, v1
	v_cndmask_b32_e64 v0, v0, v1, s0
	ds_write_b32 v2, v0
.LBB39_95:
	s_or_b32 exec_lo, exec_lo, s1
	s_waitcnt lgkmcnt(0)
	s_barrier
	buffer_gl0_inv
	s_and_saveexec_b32 s0, vcc_lo
	s_cbranch_execz .LBB39_99
; %bb.96:
	v_mbcnt_lo_u32_b32 v0, exec_lo, 0
	s_mov_b32 s6, 0
	v_cmp_eq_u32_e32 vcc_lo, 0, v0
	s_and_b32 exec_lo, exec_lo, vcc_lo
	s_cbranch_execz .LBB39_99
; %bb.97:
	s_load_dwordx4 s[0:3], s[4:5], 0x88
	v_mov_b32_e32 v2, 0
	s_waitcnt lgkmcnt(0)
	s_clause 0x1
	global_load_dword v0, v2, s[2:3]
	global_load_dword v1, v2, s[0:1]
	ds_read_b32 v3, v2
	s_waitcnt vmcnt(1) lgkmcnt(0)
	v_div_scale_f32 v4, null, v0, v0, v3
	v_rcp_f32_e32 v5, v4
	v_fma_f32 v6, -v4, v5, 1.0
	v_fmac_f32_e32 v5, v6, v5
	v_div_scale_f32 v6, vcc_lo, v3, v0, v3
	v_mul_f32_e32 v7, v6, v5
	v_fma_f32 v8, -v4, v7, v6
	v_fmac_f32_e32 v7, v8, v5
	v_fma_f32 v4, -v4, v7, v6
	v_div_fmas_f32 v4, v4, v5, v7
	v_div_fixup_f32 v0, v4, v0, v3
	v_max_f32_e32 v3, v0, v0
.LBB39_98:                              ; =>This Inner Loop Header: Depth=1
	s_waitcnt vmcnt(0)
	v_max_f32_e32 v0, v1, v1
	v_max_f32_e32 v0, v0, v3
	global_atomic_cmpswap v0, v2, v[0:1], s[0:1] glc
	s_waitcnt vmcnt(0)
	v_cmp_eq_u32_e32 vcc_lo, v0, v1
	v_mov_b32_e32 v1, v0
	s_or_b32 s6, vcc_lo, s6
	s_andn2_b32 exec_lo, exec_lo, s6
	s_cbranch_execnz .LBB39_98
.LBB39_99:
	s_endpgm
	.section	.rodata,"a",@progbits
	.p2align	6, 0x0
	.amdhsa_kernel _ZN9rocsparseL17kernel_correctionILi1024ELi16E21rocsparse_complex_numIfEiiEEvT3_T2_PKS4_S6_PKS3_PKT1_21rocsparse_index_base_S6_S6_S8_PS9_SC_S6_S6_S8_SD_SC_SD_PNS_15floating_traitsIS9_E6data_tEPKSG_
		.amdhsa_group_segment_fixed_size 256
		.amdhsa_private_segment_fixed_size 0
		.amdhsa_kernarg_size 152
		.amdhsa_user_sgpr_count 6
		.amdhsa_user_sgpr_private_segment_buffer 1
		.amdhsa_user_sgpr_dispatch_ptr 0
		.amdhsa_user_sgpr_queue_ptr 0
		.amdhsa_user_sgpr_kernarg_segment_ptr 1
		.amdhsa_user_sgpr_dispatch_id 0
		.amdhsa_user_sgpr_flat_scratch_init 0
		.amdhsa_user_sgpr_private_segment_size 0
		.amdhsa_wavefront_size32 1
		.amdhsa_uses_dynamic_stack 0
		.amdhsa_system_sgpr_private_segment_wavefront_offset 0
		.amdhsa_system_sgpr_workgroup_id_x 1
		.amdhsa_system_sgpr_workgroup_id_y 0
		.amdhsa_system_sgpr_workgroup_id_z 0
		.amdhsa_system_sgpr_workgroup_info 0
		.amdhsa_system_vgpr_workitem_id 0
		.amdhsa_next_free_vgpr 35
		.amdhsa_next_free_sgpr 52
		.amdhsa_reserve_vcc 1
		.amdhsa_reserve_flat_scratch 0
		.amdhsa_float_round_mode_32 0
		.amdhsa_float_round_mode_16_64 0
		.amdhsa_float_denorm_mode_32 3
		.amdhsa_float_denorm_mode_16_64 3
		.amdhsa_dx10_clamp 1
		.amdhsa_ieee_mode 1
		.amdhsa_fp16_overflow 0
		.amdhsa_workgroup_processor_mode 1
		.amdhsa_memory_ordered 1
		.amdhsa_forward_progress 1
		.amdhsa_shared_vgpr_count 0
		.amdhsa_exception_fp_ieee_invalid_op 0
		.amdhsa_exception_fp_denorm_src 0
		.amdhsa_exception_fp_ieee_div_zero 0
		.amdhsa_exception_fp_ieee_overflow 0
		.amdhsa_exception_fp_ieee_underflow 0
		.amdhsa_exception_fp_ieee_inexact 0
		.amdhsa_exception_int_div_zero 0
	.end_amdhsa_kernel
	.section	.text._ZN9rocsparseL17kernel_correctionILi1024ELi16E21rocsparse_complex_numIfEiiEEvT3_T2_PKS4_S6_PKS3_PKT1_21rocsparse_index_base_S6_S6_S8_PS9_SC_S6_S6_S8_SD_SC_SD_PNS_15floating_traitsIS9_E6data_tEPKSG_,"axG",@progbits,_ZN9rocsparseL17kernel_correctionILi1024ELi16E21rocsparse_complex_numIfEiiEEvT3_T2_PKS4_S6_PKS3_PKT1_21rocsparse_index_base_S6_S6_S8_PS9_SC_S6_S6_S8_SD_SC_SD_PNS_15floating_traitsIS9_E6data_tEPKSG_,comdat
.Lfunc_end39:
	.size	_ZN9rocsparseL17kernel_correctionILi1024ELi16E21rocsparse_complex_numIfEiiEEvT3_T2_PKS4_S6_PKS3_PKT1_21rocsparse_index_base_S6_S6_S8_PS9_SC_S6_S6_S8_SD_SC_SD_PNS_15floating_traitsIS9_E6data_tEPKSG_, .Lfunc_end39-_ZN9rocsparseL17kernel_correctionILi1024ELi16E21rocsparse_complex_numIfEiiEEvT3_T2_PKS4_S6_PKS3_PKT1_21rocsparse_index_base_S6_S6_S8_PS9_SC_S6_S6_S8_SD_SC_SD_PNS_15floating_traitsIS9_E6data_tEPKSG_
                                        ; -- End function
	.set _ZN9rocsparseL17kernel_correctionILi1024ELi16E21rocsparse_complex_numIfEiiEEvT3_T2_PKS4_S6_PKS3_PKT1_21rocsparse_index_base_S6_S6_S8_PS9_SC_S6_S6_S8_SD_SC_SD_PNS_15floating_traitsIS9_E6data_tEPKSG_.num_vgpr, 35
	.set _ZN9rocsparseL17kernel_correctionILi1024ELi16E21rocsparse_complex_numIfEiiEEvT3_T2_PKS4_S6_PKS3_PKT1_21rocsparse_index_base_S6_S6_S8_PS9_SC_S6_S6_S8_SD_SC_SD_PNS_15floating_traitsIS9_E6data_tEPKSG_.num_agpr, 0
	.set _ZN9rocsparseL17kernel_correctionILi1024ELi16E21rocsparse_complex_numIfEiiEEvT3_T2_PKS4_S6_PKS3_PKT1_21rocsparse_index_base_S6_S6_S8_PS9_SC_S6_S6_S8_SD_SC_SD_PNS_15floating_traitsIS9_E6data_tEPKSG_.numbered_sgpr, 52
	.set _ZN9rocsparseL17kernel_correctionILi1024ELi16E21rocsparse_complex_numIfEiiEEvT3_T2_PKS4_S6_PKS3_PKT1_21rocsparse_index_base_S6_S6_S8_PS9_SC_S6_S6_S8_SD_SC_SD_PNS_15floating_traitsIS9_E6data_tEPKSG_.num_named_barrier, 0
	.set _ZN9rocsparseL17kernel_correctionILi1024ELi16E21rocsparse_complex_numIfEiiEEvT3_T2_PKS4_S6_PKS3_PKT1_21rocsparse_index_base_S6_S6_S8_PS9_SC_S6_S6_S8_SD_SC_SD_PNS_15floating_traitsIS9_E6data_tEPKSG_.private_seg_size, 0
	.set _ZN9rocsparseL17kernel_correctionILi1024ELi16E21rocsparse_complex_numIfEiiEEvT3_T2_PKS4_S6_PKS3_PKT1_21rocsparse_index_base_S6_S6_S8_PS9_SC_S6_S6_S8_SD_SC_SD_PNS_15floating_traitsIS9_E6data_tEPKSG_.uses_vcc, 1
	.set _ZN9rocsparseL17kernel_correctionILi1024ELi16E21rocsparse_complex_numIfEiiEEvT3_T2_PKS4_S6_PKS3_PKT1_21rocsparse_index_base_S6_S6_S8_PS9_SC_S6_S6_S8_SD_SC_SD_PNS_15floating_traitsIS9_E6data_tEPKSG_.uses_flat_scratch, 0
	.set _ZN9rocsparseL17kernel_correctionILi1024ELi16E21rocsparse_complex_numIfEiiEEvT3_T2_PKS4_S6_PKS3_PKT1_21rocsparse_index_base_S6_S6_S8_PS9_SC_S6_S6_S8_SD_SC_SD_PNS_15floating_traitsIS9_E6data_tEPKSG_.has_dyn_sized_stack, 0
	.set _ZN9rocsparseL17kernel_correctionILi1024ELi16E21rocsparse_complex_numIfEiiEEvT3_T2_PKS4_S6_PKS3_PKT1_21rocsparse_index_base_S6_S6_S8_PS9_SC_S6_S6_S8_SD_SC_SD_PNS_15floating_traitsIS9_E6data_tEPKSG_.has_recursion, 0
	.set _ZN9rocsparseL17kernel_correctionILi1024ELi16E21rocsparse_complex_numIfEiiEEvT3_T2_PKS4_S6_PKS3_PKT1_21rocsparse_index_base_S6_S6_S8_PS9_SC_S6_S6_S8_SD_SC_SD_PNS_15floating_traitsIS9_E6data_tEPKSG_.has_indirect_call, 0
	.section	.AMDGPU.csdata,"",@progbits
; Kernel info:
; codeLenInByte = 4368
; TotalNumSgprs: 54
; NumVgprs: 35
; ScratchSize: 0
; MemoryBound: 0
; FloatMode: 240
; IeeeMode: 1
; LDSByteSize: 256 bytes/workgroup (compile time only)
; SGPRBlocks: 0
; VGPRBlocks: 4
; NumSGPRsForWavesPerEU: 54
; NumVGPRsForWavesPerEU: 35
; Occupancy: 16
; WaveLimiterHint : 1
; COMPUTE_PGM_RSRC2:SCRATCH_EN: 0
; COMPUTE_PGM_RSRC2:USER_SGPR: 6
; COMPUTE_PGM_RSRC2:TRAP_HANDLER: 0
; COMPUTE_PGM_RSRC2:TGID_X_EN: 1
; COMPUTE_PGM_RSRC2:TGID_Y_EN: 0
; COMPUTE_PGM_RSRC2:TGID_Z_EN: 0
; COMPUTE_PGM_RSRC2:TIDIG_COMP_CNT: 0
	.section	.text._ZN9rocsparseL17kernel_correctionILi1024ELi32E21rocsparse_complex_numIfEiiEEvT3_T2_PKS4_S6_PKS3_PKT1_21rocsparse_index_base_S6_S6_S8_PS9_SC_S6_S6_S8_SD_SC_SD_PNS_15floating_traitsIS9_E6data_tEPKSG_,"axG",@progbits,_ZN9rocsparseL17kernel_correctionILi1024ELi32E21rocsparse_complex_numIfEiiEEvT3_T2_PKS4_S6_PKS3_PKT1_21rocsparse_index_base_S6_S6_S8_PS9_SC_S6_S6_S8_SD_SC_SD_PNS_15floating_traitsIS9_E6data_tEPKSG_,comdat
	.globl	_ZN9rocsparseL17kernel_correctionILi1024ELi32E21rocsparse_complex_numIfEiiEEvT3_T2_PKS4_S6_PKS3_PKT1_21rocsparse_index_base_S6_S6_S8_PS9_SC_S6_S6_S8_SD_SC_SD_PNS_15floating_traitsIS9_E6data_tEPKSG_ ; -- Begin function _ZN9rocsparseL17kernel_correctionILi1024ELi32E21rocsparse_complex_numIfEiiEEvT3_T2_PKS4_S6_PKS3_PKT1_21rocsparse_index_base_S6_S6_S8_PS9_SC_S6_S6_S8_SD_SC_SD_PNS_15floating_traitsIS9_E6data_tEPKSG_
	.p2align	8
	.type	_ZN9rocsparseL17kernel_correctionILi1024ELi32E21rocsparse_complex_numIfEiiEEvT3_T2_PKS4_S6_PKS3_PKT1_21rocsparse_index_base_S6_S6_S8_PS9_SC_S6_S6_S8_SD_SC_SD_PNS_15floating_traitsIS9_E6data_tEPKSG_,@function
_ZN9rocsparseL17kernel_correctionILi1024ELi32E21rocsparse_complex_numIfEiiEEvT3_T2_PKS4_S6_PKS3_PKT1_21rocsparse_index_base_S6_S6_S8_PS9_SC_S6_S6_S8_SD_SC_SD_PNS_15floating_traitsIS9_E6data_tEPKSG_: ; @_ZN9rocsparseL17kernel_correctionILi1024ELi32E21rocsparse_complex_numIfEiiEEvT3_T2_PKS4_S6_PKS3_PKT1_21rocsparse_index_base_S6_S6_S8_PS9_SC_S6_S6_S8_SD_SC_SD_PNS_15floating_traitsIS9_E6data_tEPKSG_
; %bb.0:
	s_load_dword s34, s[4:5], 0x0
	v_lshrrev_b32_e32 v15, 5, v0
	s_lshl_b32 s36, s6, 10
	v_and_b32_e32 v16, 31, v0
	v_mov_b32_e32 v17, 0
	s_mov_b32 s33, exec_lo
	v_or_b32_e32 v1, s36, v15
	s_waitcnt lgkmcnt(0)
	v_cmpx_gt_i32_e64 s34, v1
	s_cbranch_execz .LBB40_81
; %bb.1:
	v_mov_b32_e32 v17, 0
	s_addk_i32 s36, 0x400
	s_mov_b32 s35, exec_lo
	v_cmpx_gt_u32_e64 s36, v1
	s_cbranch_execz .LBB40_80
; %bb.2:
	s_clause 0x6
	s_load_dword s37, s[4:5], 0x28
	s_load_dwordx8 s[8:15], s[4:5], 0x58
	s_load_dwordx8 s[16:23], s[4:5], 0x30
	;; [unrolled: 1-line block ×3, first 2 shown]
	s_load_dword s38, s[4:5], 0x50
	s_load_dwordx2 s[6:7], s[4:5], 0x80
	s_load_dword s39, s[4:5], 0x78
	v_mov_b32_e32 v3, 0
	v_mov_b32_e32 v17, 0
	s_mov_b32 s40, 0
	s_waitcnt lgkmcnt(0)
	v_subrev_nc_u32_e32 v18, s37, v16
	s_branch .LBB40_6
.LBB40_3:                               ;   in Loop: Header=BB40_6 Depth=1
	s_or_b32 exec_lo, exec_lo, s43
.LBB40_4:                               ;   in Loop: Header=BB40_6 Depth=1
	s_or_b32 exec_lo, exec_lo, s42
.LBB40_5:                               ;   in Loop: Header=BB40_6 Depth=1
	s_or_b32 exec_lo, exec_lo, s41
	v_add_nc_u32_e32 v1, 32, v1
	v_cmp_le_u32_e32 vcc_lo, s36, v1
	s_or_b32 s40, vcc_lo, s40
	s_andn2_b32 exec_lo, exec_lo, s40
	s_cbranch_execz .LBB40_79
.LBB40_6:                               ; =>This Loop Header: Depth=1
                                        ;     Child Loop BB40_10 Depth 2
                                        ;       Child Loop BB40_14 Depth 3
                                        ;       Child Loop BB40_36 Depth 3
	;; [unrolled: 1-line block ×5, first 2 shown]
	s_mov_b32 s41, exec_lo
	v_cmpx_gt_i32_e64 s34, v1
	s_cbranch_execz .LBB40_5
; %bb.7:                                ;   in Loop: Header=BB40_6 Depth=1
	v_ashrrev_i32_e32 v2, 31, v1
	s_mov_b32 s42, exec_lo
	v_lshlrev_b64 v[5:6], 2, v[1:2]
	v_add_co_u32 v7, vcc_lo, s24, v5
	v_add_co_ci_u32_e64 v8, null, s25, v6, vcc_lo
	v_add_co_u32 v9, vcc_lo, s26, v5
	v_add_co_ci_u32_e64 v10, null, s27, v6, vcc_lo
	global_load_dword v2, v[7:8], off
	global_load_dword v7, v[9:10], off
	s_waitcnt vmcnt(1)
	v_add_nc_u32_e32 v4, v18, v2
	s_waitcnt vmcnt(0)
	v_subrev_nc_u32_e32 v19, s37, v7
	v_cmpx_lt_i32_e64 v4, v19
	s_cbranch_execz .LBB40_4
; %bb.8:                                ;   in Loop: Header=BB40_6 Depth=1
	v_add_co_u32 v7, vcc_lo, s16, v5
	v_add_co_ci_u32_e64 v8, null, s17, v6, vcc_lo
	v_add_co_u32 v5, vcc_lo, s18, v5
	v_add_co_ci_u32_e64 v6, null, s19, v6, vcc_lo
	global_load_dword v2, v[7:8], off
	s_mov_b32 s43, 0
	global_load_dword v5, v[5:6], off
	s_waitcnt vmcnt(1)
	v_subrev_nc_u32_e32 v6, s38, v2
	s_waitcnt vmcnt(0)
	v_sub_nc_u32_e32 v20, v5, v2
	v_ashrrev_i32_e32 v7, 31, v6
	v_cmp_lt_i32_e64 s0, 0, v20
	v_lshlrev_b64 v[8:9], 2, v[6:7]
	v_lshlrev_b64 v[10:11], 3, v[6:7]
	v_add_co_u32 v21, vcc_lo, s20, v8
	v_add_co_ci_u32_e64 v22, null, s21, v9, vcc_lo
	v_add_co_u32 v23, vcc_lo, s22, v10
	v_add_co_ci_u32_e64 v24, null, s23, v11, vcc_lo
	s_branch .LBB40_10
.LBB40_9:                               ;   in Loop: Header=BB40_10 Depth=2
	s_or_b32 exec_lo, exec_lo, s3
	v_add_nc_u32_e32 v4, 32, v4
	v_cmp_nlg_f32_e64 s2, 0x7f800000, |v13|
	v_cmp_gt_f32_e32 vcc_lo, v17, v13
	v_cmp_ge_i32_e64 s1, v4, v19
	s_or_b32 vcc_lo, s2, vcc_lo
	v_cndmask_b32_e32 v17, v13, v17, vcc_lo
	s_or_b32 s43, s1, s43
	s_andn2_b32 exec_lo, exec_lo, s43
	s_cbranch_execz .LBB40_3
.LBB40_10:                              ;   Parent Loop BB40_6 Depth=1
                                        ; =>  This Loop Header: Depth=2
                                        ;       Child Loop BB40_14 Depth 3
                                        ;       Child Loop BB40_36 Depth 3
	;; [unrolled: 1-line block ×5, first 2 shown]
	v_ashrrev_i32_e32 v5, 31, v4
	v_mov_b32_e32 v27, 0
	v_mov_b32_e32 v28, 0
	v_lshlrev_b64 v[7:8], 2, v[4:5]
	v_add_co_u32 v7, vcc_lo, s28, v7
	v_add_co_ci_u32_e64 v8, null, s29, v8, vcc_lo
	global_load_dword v2, v[7:8], off
	s_waitcnt vmcnt(0)
	v_subrev_nc_u32_e32 v7, s37, v2
	v_mov_b32_e32 v2, 0
	v_ashrrev_i32_e32 v8, 31, v7
	v_lshlrev_b64 v[9:10], 2, v[7:8]
	v_add_co_u32 v11, vcc_lo, s8, v9
	v_add_co_ci_u32_e64 v12, null, s9, v10, vcc_lo
	v_add_co_u32 v9, vcc_lo, s10, v9
	v_add_co_ci_u32_e64 v10, null, s11, v10, vcc_lo
	global_load_dword v11, v[11:12], off
	global_load_dword v10, v[9:10], off
	s_waitcnt vmcnt(1)
	v_subrev_nc_u32_e32 v9, s39, v11
	s_waitcnt vmcnt(0)
	v_sub_nc_u32_e32 v25, v10, v11
	v_mov_b32_e32 v10, v2
	s_and_saveexec_b32 s2, s0
	s_cbranch_execz .LBB40_18
; %bb.11:                               ;   in Loop: Header=BB40_10 Depth=2
	v_ashrrev_i32_e32 v10, 31, v9
	v_mov_b32_e32 v27, 0
	v_mov_b32_e32 v2, 0
	;; [unrolled: 1-line block ×3, first 2 shown]
	s_mov_b32 s3, 0
	v_lshlrev_b64 v[12:13], 2, v[9:10]
	v_lshlrev_b64 v[10:11], 3, v[9:10]
                                        ; implicit-def: $sgpr44
	v_add_co_u32 v12, vcc_lo, s12, v12
	v_add_co_ci_u32_e64 v13, null, s13, v13, vcc_lo
	v_add_co_u32 v14, vcc_lo, s14, v10
	v_add_co_ci_u32_e64 v26, null, s15, v11, vcc_lo
	v_mov_b32_e32 v10, 0
	s_branch .LBB40_14
.LBB40_12:                              ;   in Loop: Header=BB40_14 Depth=3
	s_or_b32 exec_lo, exec_lo, s1
	v_cmp_le_i32_e32 vcc_lo, v29, v30
	v_cmp_ge_i32_e64 s1, v29, v30
	v_add_co_ci_u32_e64 v2, null, 0, v2, vcc_lo
	v_add_co_ci_u32_e64 v10, null, 0, v10, s1
	s_andn2_b32 s1, s44, exec_lo
	v_cmp_ge_i32_e32 vcc_lo, v2, v20
	s_and_b32 s44, vcc_lo, exec_lo
	s_or_b32 s44, s1, s44
.LBB40_13:                              ;   in Loop: Header=BB40_14 Depth=3
	s_or_b32 exec_lo, exec_lo, s45
	s_and_b32 s1, exec_lo, s44
	s_or_b32 s3, s1, s3
	s_andn2_b32 exec_lo, exec_lo, s3
	s_cbranch_execz .LBB40_17
.LBB40_14:                              ;   Parent Loop BB40_6 Depth=1
                                        ;     Parent Loop BB40_10 Depth=2
                                        ; =>    This Inner Loop Header: Depth=3
	s_or_b32 s44, s44, exec_lo
	s_mov_b32 s45, exec_lo
	v_cmpx_lt_i32_e64 v10, v25
	s_cbranch_execz .LBB40_13
; %bb.15:                               ;   in Loop: Header=BB40_14 Depth=3
	v_mov_b32_e32 v11, v3
	v_lshlrev_b64 v[29:30], 2, v[2:3]
	s_mov_b32 s1, exec_lo
	v_lshlrev_b64 v[31:32], 2, v[10:11]
	v_add_co_u32 v29, vcc_lo, v21, v29
	v_add_co_ci_u32_e64 v30, null, v22, v30, vcc_lo
	v_add_co_u32 v31, vcc_lo, v12, v31
	v_add_co_ci_u32_e64 v32, null, v13, v32, vcc_lo
	global_load_dword v29, v[29:30], off
	global_load_dword v30, v[31:32], off
	s_waitcnt vmcnt(1)
	v_subrev_nc_u32_e32 v29, s38, v29
	s_waitcnt vmcnt(0)
	v_subrev_nc_u32_e32 v30, s39, v30
	v_cmpx_eq_u32_e64 v29, v30
	s_cbranch_execz .LBB40_12
; %bb.16:                               ;   in Loop: Header=BB40_14 Depth=3
	v_lshlrev_b64 v[31:32], 3, v[2:3]
	v_lshlrev_b64 v[33:34], 3, v[10:11]
	v_add_co_u32 v31, vcc_lo, v23, v31
	v_add_co_ci_u32_e64 v32, null, v24, v32, vcc_lo
	v_add_co_u32 v33, vcc_lo, v14, v33
	v_add_co_ci_u32_e64 v34, null, v26, v34, vcc_lo
	global_load_dwordx2 v[31:32], v[31:32], off
	global_load_dwordx2 v[33:34], v[33:34], off
	s_waitcnt vmcnt(0)
	v_fmac_f32_e32 v27, v31, v33
	v_fmac_f32_e32 v28, v32, v33
	v_fma_f32 v27, -v32, v34, v27
	v_fmac_f32_e32 v28, v31, v34
	s_branch .LBB40_12
.LBB40_17:                              ;   in Loop: Header=BB40_10 Depth=2
	s_or_b32 exec_lo, exec_lo, s3
.LBB40_18:                              ;   in Loop: Header=BB40_10 Depth=2
	s_or_b32 exec_lo, exec_lo, s2
	v_lshlrev_b64 v[11:12], 3, v[4:5]
	v_cmp_le_i32_e64 s2, v1, v7
	s_mov_b32 s1, exec_lo
	v_add_co_u32 v11, vcc_lo, s30, v11
	v_add_co_ci_u32_e64 v12, null, s31, v12, vcc_lo
	global_load_dwordx2 v[11:12], v[11:12], off
	s_waitcnt vmcnt(0)
	v_sub_f32_e32 v26, v11, v27
	v_sub_f32_e32 v5, v12, v28
	v_cmpx_gt_i32_e64 v1, v7
	s_cbranch_execz .LBB40_20
; %bb.19:                               ;   in Loop: Header=BB40_10 Depth=2
	v_lshlrev_b64 v[13:14], 3, v[7:8]
	v_add_co_u32 v13, vcc_lo, s6, v13
	v_add_co_ci_u32_e64 v14, null, s7, v14, vcc_lo
	global_load_dwordx2 v[13:14], v[13:14], off
	s_waitcnt vmcnt(0)
	v_mul_f32_e32 v29, v14, v14
	v_fmac_f32_e32 v29, v13, v13
	v_div_scale_f32 v30, null, v29, v29, 1.0
	v_div_scale_f32 v33, vcc_lo, 1.0, v29, 1.0
	v_rcp_f32_e32 v31, v30
	v_fma_f32 v32, -v30, v31, 1.0
	v_fmac_f32_e32 v31, v32, v31
	v_mul_f32_e32 v32, v33, v31
	v_fma_f32 v34, -v30, v32, v33
	v_fmac_f32_e32 v32, v34, v31
	v_fma_f32 v30, -v30, v32, v33
	v_div_fmas_f32 v30, v30, v31, v32
	v_mul_f32_e32 v31, v5, v14
	v_mul_f32_e64 v14, v14, -v26
	v_div_fixup_f32 v29, v30, v29, 1.0
	v_fmac_f32_e32 v31, v26, v13
	v_fmac_f32_e32 v14, v5, v13
	v_mul_f32_e32 v26, v31, v29
	v_mul_f32_e32 v5, v14, v29
.LBB40_20:                              ;   in Loop: Header=BB40_10 Depth=2
	s_or_b32 exec_lo, exec_lo, s1
	v_cmp_lt_i32_e64 s1, v10, v25
	s_mov_b32 s3, exec_lo
	v_cmpx_ge_i32_e64 v10, v25
	s_xor_b32 s3, exec_lo, s3
	s_cbranch_execnz .LBB40_33
; %bb.21:                               ;   in Loop: Header=BB40_10 Depth=2
	s_andn2_saveexec_b32 s3, s3
	s_cbranch_execnz .LBB40_49
.LBB40_22:                              ;   in Loop: Header=BB40_10 Depth=2
	s_or_b32 exec_lo, exec_lo, s3
	s_mov_b32 s3, exec_lo
	v_cmpx_eq_u32_e64 v1, v7
	s_cbranch_execz .LBB40_24
.LBB40_23:                              ;   in Loop: Header=BB40_10 Depth=2
	v_lshlrev_b64 v[13:14], 3, v[7:8]
	v_add_co_u32 v13, vcc_lo, s6, v13
	v_add_co_ci_u32_e64 v14, null, s7, v14, vcc_lo
	global_load_dwordx2 v[13:14], v[13:14], off
	s_waitcnt vmcnt(0)
	v_add_f32_e32 v27, v27, v13
	v_add_f32_e32 v28, v28, v14
.LBB40_24:                              ;   in Loop: Header=BB40_10 Depth=2
	s_or_b32 exec_lo, exec_lo, s3
	v_sub_f32_e32 v11, v11, v27
	v_sub_f32_e32 v14, v12, v28
                                        ; implicit-def: $vgpr13
	s_mov_b32 s3, exec_lo
	v_cmp_gt_f32_e32 vcc_lo, 0, v11
	v_cndmask_b32_e64 v11, v11, -v11, vcc_lo
	v_cmp_gt_f32_e32 vcc_lo, 0, v14
	v_cndmask_b32_e64 v12, v14, -v14, vcc_lo
	v_cmpx_ngt_f32_e32 v11, v12
	s_xor_b32 s44, exec_lo, s3
	s_cbranch_execz .LBB40_28
; %bb.25:                               ;   in Loop: Header=BB40_10 Depth=2
	v_mov_b32_e32 v13, 0
	s_mov_b32 s45, exec_lo
	v_cmpx_neq_f32_e32 0, v14
	s_cbranch_execz .LBB40_27
; %bb.26:                               ;   in Loop: Header=BB40_10 Depth=2
	v_div_scale_f32 v13, null, v12, v12, v11
	v_div_scale_f32 v28, vcc_lo, v11, v12, v11
	v_rcp_f32_e32 v14, v13
	v_fma_f32 v27, -v13, v14, 1.0
	v_fmac_f32_e32 v14, v27, v14
	v_mul_f32_e32 v27, v28, v14
	v_fma_f32 v29, -v13, v27, v28
	v_fmac_f32_e32 v27, v29, v14
	v_fma_f32 v13, -v13, v27, v28
	v_div_fmas_f32 v13, v13, v14, v27
	v_div_fixup_f32 v11, v13, v12, v11
	v_fma_f32 v11, v11, v11, 1.0
	v_mul_f32_e32 v13, 0x4f800000, v11
	v_cmp_gt_f32_e32 vcc_lo, 0xf800000, v11
	v_cndmask_b32_e32 v11, v11, v13, vcc_lo
	v_sqrt_f32_e32 v13, v11
	v_add_nc_u32_e32 v14, -1, v13
	v_add_nc_u32_e32 v27, 1, v13
	v_fma_f32 v28, -v14, v13, v11
	v_fma_f32 v29, -v27, v13, v11
	v_cmp_ge_f32_e64 s3, 0, v28
	v_cndmask_b32_e64 v13, v13, v14, s3
	v_cmp_lt_f32_e64 s3, 0, v29
	v_cndmask_b32_e64 v13, v13, v27, s3
	v_mul_f32_e32 v14, 0x37800000, v13
	v_cndmask_b32_e32 v13, v13, v14, vcc_lo
	v_cmp_class_f32_e64 vcc_lo, v11, 0x260
	v_cndmask_b32_e32 v11, v13, v11, vcc_lo
	v_mul_f32_e32 v13, v12, v11
.LBB40_27:                              ;   in Loop: Header=BB40_10 Depth=2
	s_or_b32 exec_lo, exec_lo, s45
                                        ; implicit-def: $vgpr11
                                        ; implicit-def: $vgpr12
.LBB40_28:                              ;   in Loop: Header=BB40_10 Depth=2
	s_andn2_saveexec_b32 s44, s44
	s_cbranch_execz .LBB40_30
; %bb.29:                               ;   in Loop: Header=BB40_10 Depth=2
	v_div_scale_f32 v13, null, v11, v11, v12
	v_div_scale_f32 v28, vcc_lo, v12, v11, v12
	v_rcp_f32_e32 v14, v13
	v_fma_f32 v27, -v13, v14, 1.0
	v_fmac_f32_e32 v14, v27, v14
	v_mul_f32_e32 v27, v28, v14
	v_fma_f32 v29, -v13, v27, v28
	v_fmac_f32_e32 v27, v29, v14
	v_fma_f32 v13, -v13, v27, v28
	v_div_fmas_f32 v13, v13, v14, v27
	v_div_fixup_f32 v12, v13, v11, v12
	v_fma_f32 v12, v12, v12, 1.0
	v_mul_f32_e32 v13, 0x4f800000, v12
	v_cmp_gt_f32_e32 vcc_lo, 0xf800000, v12
	v_cndmask_b32_e32 v12, v12, v13, vcc_lo
	v_sqrt_f32_e32 v13, v12
	v_add_nc_u32_e32 v14, -1, v13
	v_add_nc_u32_e32 v27, 1, v13
	v_fma_f32 v28, -v14, v13, v12
	v_fma_f32 v29, -v27, v13, v12
	v_cmp_ge_f32_e64 s3, 0, v28
	v_cndmask_b32_e64 v13, v13, v14, s3
	v_cmp_lt_f32_e64 s3, 0, v29
	v_cndmask_b32_e64 v13, v13, v27, s3
	v_mul_f32_e32 v14, 0x37800000, v13
	v_cndmask_b32_e32 v13, v13, v14, vcc_lo
	v_cmp_class_f32_e64 vcc_lo, v12, 0x260
	v_cndmask_b32_e32 v12, v13, v12, vcc_lo
	v_mul_f32_e32 v13, v11, v12
.LBB40_30:                              ;   in Loop: Header=BB40_10 Depth=2
	s_or_b32 exec_lo, exec_lo, s44
	v_cmp_gt_f32_e32 vcc_lo, 0, v26
                                        ; implicit-def: $vgpr14
	s_mov_b32 s3, exec_lo
	v_cndmask_b32_e64 v11, v26, -v26, vcc_lo
	v_cmp_gt_f32_e32 vcc_lo, 0, v5
	v_cndmask_b32_e64 v12, v5, -v5, vcc_lo
	v_cmpx_ngt_f32_e32 v11, v12
	s_xor_b32 s44, exec_lo, s3
	s_cbranch_execnz .LBB40_38
; %bb.31:                               ;   in Loop: Header=BB40_10 Depth=2
	s_andn2_saveexec_b32 s44, s44
	s_cbranch_execnz .LBB40_41
.LBB40_32:                              ;   in Loop: Header=BB40_10 Depth=2
	s_or_b32 exec_lo, exec_lo, s44
	v_cmp_class_f32_e64 s44, v14, 0x1f8
	s_and_saveexec_b32 s3, s44
	s_cbranch_execz .LBB40_9
	s_branch .LBB40_42
.LBB40_33:                              ;   in Loop: Header=BB40_10 Depth=2
	s_mov_b32 s44, exec_lo
	v_cmpx_lt_i32_e64 v2, v20
	s_cbranch_execz .LBB40_48
; %bb.34:                               ;   in Loop: Header=BB40_10 Depth=2
	v_mov_b32_e32 v29, v2
	s_mov_b32 s46, 0
                                        ; implicit-def: $sgpr45
                                        ; implicit-def: $sgpr48
                                        ; implicit-def: $sgpr47
	s_inst_prefetch 0x1
	s_branch .LBB40_36
	.p2align	6
.LBB40_35:                              ;   in Loop: Header=BB40_36 Depth=3
	s_or_b32 exec_lo, exec_lo, s49
	s_and_b32 s49, exec_lo, s48
	s_or_b32 s46, s49, s46
	s_andn2_b32 s45, s45, exec_lo
	s_and_b32 s49, s47, exec_lo
	s_or_b32 s45, s45, s49
	s_andn2_b32 exec_lo, exec_lo, s46
	s_cbranch_execz .LBB40_45
.LBB40_36:                              ;   Parent Loop BB40_6 Depth=1
                                        ;     Parent Loop BB40_10 Depth=2
                                        ; =>    This Inner Loop Header: Depth=3
	v_add_nc_u32_e32 v13, v6, v29
	s_or_b32 s47, s47, exec_lo
	s_or_b32 s48, s48, exec_lo
	s_mov_b32 s49, exec_lo
	v_ashrrev_i32_e32 v14, 31, v13
	v_lshlrev_b64 v[30:31], 2, v[13:14]
	v_add_co_u32 v30, vcc_lo, s20, v30
	v_add_co_ci_u32_e64 v31, null, s21, v31, vcc_lo
	global_load_dword v30, v[30:31], off
	s_waitcnt vmcnt(0)
	v_subrev_nc_u32_e32 v30, s38, v30
	v_cmpx_ne_u32_e64 v30, v7
	s_cbranch_execz .LBB40_35
; %bb.37:                               ;   in Loop: Header=BB40_36 Depth=3
	v_add_nc_u32_e32 v29, 1, v29
	s_andn2_b32 s48, s48, exec_lo
	s_andn2_b32 s47, s47, exec_lo
	v_cmp_ge_i32_e32 vcc_lo, v29, v20
	s_and_b32 s50, vcc_lo, exec_lo
	s_or_b32 s48, s48, s50
	s_branch .LBB40_35
.LBB40_38:                              ;   in Loop: Header=BB40_10 Depth=2
	v_mov_b32_e32 v14, 0
	s_mov_b32 s45, exec_lo
	v_cmpx_neq_f32_e32 0, v5
	s_cbranch_execz .LBB40_40
; %bb.39:                               ;   in Loop: Header=BB40_10 Depth=2
	v_div_scale_f32 v14, null, v12, v12, v11
	v_div_scale_f32 v29, vcc_lo, v11, v12, v11
	v_rcp_f32_e32 v27, v14
	v_fma_f32 v28, -v14, v27, 1.0
	v_fmac_f32_e32 v27, v28, v27
	v_mul_f32_e32 v28, v29, v27
	v_fma_f32 v30, -v14, v28, v29
	v_fmac_f32_e32 v28, v30, v27
	v_fma_f32 v14, -v14, v28, v29
	v_div_fmas_f32 v14, v14, v27, v28
	v_div_fixup_f32 v11, v14, v12, v11
	v_fma_f32 v11, v11, v11, 1.0
	v_mul_f32_e32 v14, 0x4f800000, v11
	v_cmp_gt_f32_e32 vcc_lo, 0xf800000, v11
	v_cndmask_b32_e32 v11, v11, v14, vcc_lo
	v_sqrt_f32_e32 v14, v11
	v_add_nc_u32_e32 v27, -1, v14
	v_add_nc_u32_e32 v28, 1, v14
	v_fma_f32 v29, -v27, v14, v11
	v_fma_f32 v30, -v28, v14, v11
	v_cmp_ge_f32_e64 s3, 0, v29
	v_cndmask_b32_e64 v14, v14, v27, s3
	v_cmp_lt_f32_e64 s3, 0, v30
	v_cndmask_b32_e64 v14, v14, v28, s3
	v_mul_f32_e32 v27, 0x37800000, v14
	v_cndmask_b32_e32 v14, v14, v27, vcc_lo
	v_cmp_class_f32_e64 vcc_lo, v11, 0x260
	v_cndmask_b32_e32 v11, v14, v11, vcc_lo
	v_mul_f32_e32 v14, v12, v11
.LBB40_40:                              ;   in Loop: Header=BB40_10 Depth=2
	s_or_b32 exec_lo, exec_lo, s45
                                        ; implicit-def: $vgpr11
                                        ; implicit-def: $vgpr12
	s_andn2_saveexec_b32 s44, s44
	s_cbranch_execz .LBB40_32
.LBB40_41:                              ;   in Loop: Header=BB40_10 Depth=2
	v_div_scale_f32 v14, null, v11, v11, v12
	v_div_scale_f32 v29, vcc_lo, v12, v11, v12
	v_rcp_f32_e32 v27, v14
	v_fma_f32 v28, -v14, v27, 1.0
	v_fmac_f32_e32 v27, v28, v27
	v_mul_f32_e32 v28, v29, v27
	v_fma_f32 v30, -v14, v28, v29
	v_fmac_f32_e32 v28, v30, v27
	v_fma_f32 v14, -v14, v28, v29
	v_div_fmas_f32 v14, v14, v27, v28
	v_div_fixup_f32 v12, v14, v11, v12
	v_fma_f32 v12, v12, v12, 1.0
	v_mul_f32_e32 v14, 0x4f800000, v12
	v_cmp_gt_f32_e32 vcc_lo, 0xf800000, v12
	v_cndmask_b32_e32 v12, v12, v14, vcc_lo
	v_sqrt_f32_e32 v14, v12
	v_add_nc_u32_e32 v27, -1, v14
	v_add_nc_u32_e32 v28, 1, v14
	v_fma_f32 v29, -v27, v14, v12
	v_fma_f32 v30, -v28, v14, v12
	v_cmp_ge_f32_e64 s3, 0, v29
	v_cndmask_b32_e64 v14, v14, v27, s3
	v_cmp_lt_f32_e64 s3, 0, v30
	v_cndmask_b32_e64 v14, v14, v28, s3
	v_mul_f32_e32 v27, 0x37800000, v14
	v_cndmask_b32_e32 v14, v14, v27, vcc_lo
	v_cmp_class_f32_e64 vcc_lo, v12, 0x260
	v_cndmask_b32_e32 v12, v14, v12, vcc_lo
	v_mul_f32_e32 v14, v11, v12
	s_or_b32 exec_lo, exec_lo, s44
	v_cmp_class_f32_e64 s44, v14, 0x1f8
	s_and_saveexec_b32 s3, s44
	s_cbranch_execz .LBB40_9
.LBB40_42:                              ;   in Loop: Header=BB40_10 Depth=2
	s_mov_b32 s44, 0
                                        ; implicit-def: $vgpr11_vgpr12
	s_and_saveexec_b32 s45, s2
	s_xor_b32 s2, exec_lo, s45
	s_cbranch_execnz .LBB40_56
; %bb.43:                               ;   in Loop: Header=BB40_10 Depth=2
	s_andn2_saveexec_b32 s1, s2
	s_cbranch_execnz .LBB40_69
.LBB40_44:                              ;   in Loop: Header=BB40_10 Depth=2
	s_or_b32 exec_lo, exec_lo, s1
	s_and_b32 exec_lo, exec_lo, s44
	s_cbranch_execz .LBB40_9
	s_branch .LBB40_78
.LBB40_45:                              ;   in Loop: Header=BB40_10 Depth=2
	s_inst_prefetch 0x2
	s_or_b32 exec_lo, exec_lo, s46
	s_and_saveexec_b32 s46, s45
	s_xor_b32 s45, exec_lo, s46
	s_cbranch_execz .LBB40_47
; %bb.46:                               ;   in Loop: Header=BB40_10 Depth=2
	v_lshlrev_b64 v[13:14], 3, v[13:14]
	v_lshlrev_b64 v[29:30], 3, v[7:8]
	v_add_co_u32 v13, vcc_lo, s22, v13
	v_add_co_ci_u32_e64 v14, null, s23, v14, vcc_lo
	v_add_co_u32 v29, vcc_lo, s6, v29
	v_add_co_ci_u32_e64 v30, null, s7, v30, vcc_lo
	global_load_dwordx2 v[13:14], v[13:14], off
	global_load_dwordx2 v[29:30], v[29:30], off
	s_waitcnt vmcnt(0)
	v_mul_f32_e64 v31, v30, -v14
	v_mul_f32_e32 v30, v30, v13
	v_fmac_f32_e32 v31, v13, v29
	v_fmac_f32_e32 v30, v14, v29
	v_add_f32_e32 v27, v27, v31
	v_add_f32_e32 v28, v28, v30
.LBB40_47:                              ;   in Loop: Header=BB40_10 Depth=2
	s_or_b32 exec_lo, exec_lo, s45
.LBB40_48:                              ;   in Loop: Header=BB40_10 Depth=2
	s_or_b32 exec_lo, exec_lo, s44
	s_andn2_saveexec_b32 s3, s3
	s_cbranch_execz .LBB40_22
.LBB40_49:                              ;   in Loop: Header=BB40_10 Depth=2
	v_mov_b32_e32 v29, v10
	s_mov_b32 s45, 0
                                        ; implicit-def: $sgpr44
                                        ; implicit-def: $sgpr47
                                        ; implicit-def: $sgpr46
	s_inst_prefetch 0x1
	s_branch .LBB40_51
	.p2align	6
.LBB40_50:                              ;   in Loop: Header=BB40_51 Depth=3
	s_or_b32 exec_lo, exec_lo, s48
	s_and_b32 s48, exec_lo, s47
	s_or_b32 s45, s48, s45
	s_andn2_b32 s44, s44, exec_lo
	s_and_b32 s48, s46, exec_lo
	s_or_b32 s44, s44, s48
	s_andn2_b32 exec_lo, exec_lo, s45
	s_cbranch_execz .LBB40_53
.LBB40_51:                              ;   Parent Loop BB40_6 Depth=1
                                        ;     Parent Loop BB40_10 Depth=2
                                        ; =>    This Inner Loop Header: Depth=3
	v_add_nc_u32_e32 v13, v9, v29
	s_or_b32 s46, s46, exec_lo
	s_or_b32 s47, s47, exec_lo
	s_mov_b32 s48, exec_lo
	v_ashrrev_i32_e32 v14, 31, v13
	v_lshlrev_b64 v[30:31], 2, v[13:14]
	v_add_co_u32 v30, vcc_lo, s12, v30
	v_add_co_ci_u32_e64 v31, null, s13, v31, vcc_lo
	global_load_dword v30, v[30:31], off
	s_waitcnt vmcnt(0)
	v_subrev_nc_u32_e32 v30, s39, v30
	v_cmpx_ne_u32_e64 v30, v1
	s_cbranch_execz .LBB40_50
; %bb.52:                               ;   in Loop: Header=BB40_51 Depth=3
	v_add_nc_u32_e32 v29, 1, v29
	s_andn2_b32 s47, s47, exec_lo
	s_andn2_b32 s46, s46, exec_lo
	v_cmp_ge_i32_e32 vcc_lo, v29, v25
	s_and_b32 s49, vcc_lo, exec_lo
	s_or_b32 s47, s47, s49
	s_branch .LBB40_50
.LBB40_53:                              ;   in Loop: Header=BB40_10 Depth=2
	s_inst_prefetch 0x2
	s_or_b32 exec_lo, exec_lo, s45
	s_and_saveexec_b32 s45, s44
	s_xor_b32 s44, exec_lo, s45
	s_cbranch_execz .LBB40_55
; %bb.54:                               ;   in Loop: Header=BB40_10 Depth=2
	v_lshlrev_b64 v[13:14], 3, v[13:14]
	v_add_co_u32 v13, vcc_lo, s14, v13
	v_add_co_ci_u32_e64 v14, null, s15, v14, vcc_lo
	global_load_dwordx2 v[13:14], v[13:14], off
	s_waitcnt vmcnt(0)
	v_add_f32_e32 v27, v27, v13
	v_add_f32_e32 v28, v28, v14
.LBB40_55:                              ;   in Loop: Header=BB40_10 Depth=2
	s_or_b32 exec_lo, exec_lo, s44
	s_or_b32 exec_lo, exec_lo, s3
	s_mov_b32 s3, exec_lo
	v_cmpx_eq_u32_e64 v1, v7
	s_cbranch_execnz .LBB40_23
	s_branch .LBB40_24
.LBB40_56:                              ;   in Loop: Header=BB40_10 Depth=2
	s_mov_b32 s45, exec_lo
                                        ; implicit-def: $vgpr11_vgpr12
	v_cmpx_ge_i32_e64 v1, v7
	s_xor_b32 s45, exec_lo, s45
	s_cbranch_execz .LBB40_58
; %bb.57:                               ;   in Loop: Header=BB40_10 Depth=2
	v_lshlrev_b64 v[7:8], 3, v[7:8]
	s_mov_b32 s44, exec_lo
                                        ; implicit-def: $vgpr10
                                        ; implicit-def: $vgpr9
                                        ; implicit-def: $vgpr25
	v_add_co_u32 v11, vcc_lo, s6, v7
	v_add_co_ci_u32_e64 v12, null, s7, v8, vcc_lo
	global_store_dword v[11:12], v26, off
                                        ; implicit-def: $vgpr26
.LBB40_58:                              ;   in Loop: Header=BB40_10 Depth=2
	s_andn2_saveexec_b32 s45, s45
	s_cbranch_execz .LBB40_68
; %bb.59:                               ;   in Loop: Header=BB40_10 Depth=2
	s_mov_b32 s47, s44
                                        ; implicit-def: $vgpr11_vgpr12
	s_and_saveexec_b32 s46, s1
	s_cbranch_execz .LBB40_67
; %bb.60:                               ;   in Loop: Header=BB40_10 Depth=2
	s_mov_b32 s47, 0
                                        ; implicit-def: $sgpr1
                                        ; implicit-def: $sgpr49
                                        ; implicit-def: $sgpr48
	s_inst_prefetch 0x1
	s_branch .LBB40_62
	.p2align	6
.LBB40_61:                              ;   in Loop: Header=BB40_62 Depth=3
	s_or_b32 exec_lo, exec_lo, s50
	s_and_b32 s50, exec_lo, s49
	s_or_b32 s47, s50, s47
	s_andn2_b32 s1, s1, exec_lo
	s_and_b32 s50, s48, exec_lo
	s_or_b32 s1, s1, s50
	s_andn2_b32 exec_lo, exec_lo, s47
	s_cbranch_execz .LBB40_64
.LBB40_62:                              ;   Parent Loop BB40_6 Depth=1
                                        ;     Parent Loop BB40_10 Depth=2
                                        ; =>    This Inner Loop Header: Depth=3
	v_add_nc_u32_e32 v7, v9, v10
	s_or_b32 s48, s48, exec_lo
	s_or_b32 s49, s49, exec_lo
	s_mov_b32 s50, exec_lo
	v_ashrrev_i32_e32 v8, 31, v7
	v_lshlrev_b64 v[11:12], 2, v[7:8]
	v_add_co_u32 v11, vcc_lo, s12, v11
	v_add_co_ci_u32_e64 v12, null, s13, v12, vcc_lo
	global_load_dword v2, v[11:12], off
	s_waitcnt vmcnt(0)
	v_subrev_nc_u32_e32 v2, s39, v2
	v_cmpx_ne_u32_e64 v2, v1
	s_cbranch_execz .LBB40_61
; %bb.63:                               ;   in Loop: Header=BB40_62 Depth=3
	v_add_nc_u32_e32 v10, 1, v10
	s_andn2_b32 s49, s49, exec_lo
	s_andn2_b32 s48, s48, exec_lo
	v_cmp_ge_i32_e32 vcc_lo, v10, v25
	s_and_b32 s51, vcc_lo, exec_lo
	s_or_b32 s49, s49, s51
	s_branch .LBB40_61
.LBB40_64:                              ;   in Loop: Header=BB40_10 Depth=2
	s_inst_prefetch 0x2
	s_or_b32 exec_lo, exec_lo, s47
	s_mov_b32 s47, s44
                                        ; implicit-def: $vgpr11_vgpr12
	s_and_saveexec_b32 s48, s1
	s_xor_b32 s1, exec_lo, s48
	s_cbranch_execz .LBB40_66
; %bb.65:                               ;   in Loop: Header=BB40_10 Depth=2
	v_lshlrev_b64 v[7:8], 3, v[7:8]
	s_or_b32 s47, s44, exec_lo
	v_add_co_u32 v11, vcc_lo, s14, v7
	v_add_co_ci_u32_e64 v12, null, s15, v8, vcc_lo
	global_store_dword v[11:12], v26, off
.LBB40_66:                              ;   in Loop: Header=BB40_10 Depth=2
	s_or_b32 exec_lo, exec_lo, s1
	s_andn2_b32 s1, s44, exec_lo
	s_and_b32 s47, s47, exec_lo
	s_or_b32 s47, s1, s47
.LBB40_67:                              ;   in Loop: Header=BB40_10 Depth=2
	s_or_b32 exec_lo, exec_lo, s46
	s_andn2_b32 s1, s44, exec_lo
	s_and_b32 s44, s47, exec_lo
	s_or_b32 s44, s1, s44
.LBB40_68:                              ;   in Loop: Header=BB40_10 Depth=2
	s_or_b32 exec_lo, exec_lo, s45
	s_and_b32 s44, s44, exec_lo
                                        ; implicit-def: $vgpr26
                                        ; implicit-def: $vgpr7_vgpr8
	s_andn2_saveexec_b32 s1, s2
	s_cbranch_execz .LBB40_44
.LBB40_69:                              ;   in Loop: Header=BB40_10 Depth=2
	s_mov_b32 s45, s44
	s_mov_b32 s2, exec_lo
                                        ; implicit-def: $vgpr11_vgpr12
	v_cmpx_lt_i32_e64 v2, v20
	s_cbranch_execz .LBB40_77
; %bb.70:                               ;   in Loop: Header=BB40_10 Depth=2
	s_mov_b32 s46, 0
                                        ; implicit-def: $sgpr45
                                        ; implicit-def: $sgpr48
                                        ; implicit-def: $sgpr47
	s_inst_prefetch 0x1
	s_branch .LBB40_72
	.p2align	6
.LBB40_71:                              ;   in Loop: Header=BB40_72 Depth=3
	s_or_b32 exec_lo, exec_lo, s49
	s_and_b32 s49, exec_lo, s48
	s_or_b32 s46, s49, s46
	s_andn2_b32 s45, s45, exec_lo
	s_and_b32 s49, s47, exec_lo
	s_or_b32 s45, s45, s49
	s_andn2_b32 exec_lo, exec_lo, s46
	s_cbranch_execz .LBB40_74
.LBB40_72:                              ;   Parent Loop BB40_6 Depth=1
                                        ;     Parent Loop BB40_10 Depth=2
                                        ; =>    This Inner Loop Header: Depth=3
	v_add_nc_u32_e32 v8, v6, v2
	s_or_b32 s47, s47, exec_lo
	s_or_b32 s48, s48, exec_lo
	s_mov_b32 s49, exec_lo
	v_ashrrev_i32_e32 v9, 31, v8
	v_lshlrev_b64 v[10:11], 2, v[8:9]
	v_add_co_u32 v10, vcc_lo, s20, v10
	v_add_co_ci_u32_e64 v11, null, s21, v11, vcc_lo
	global_load_dword v10, v[10:11], off
	s_waitcnt vmcnt(0)
	v_subrev_nc_u32_e32 v10, s38, v10
	v_cmpx_ne_u32_e64 v10, v7
	s_cbranch_execz .LBB40_71
; %bb.73:                               ;   in Loop: Header=BB40_72 Depth=3
	v_add_nc_u32_e32 v2, 1, v2
	s_andn2_b32 s48, s48, exec_lo
	s_andn2_b32 s47, s47, exec_lo
	v_cmp_ge_i32_e32 vcc_lo, v2, v20
	s_and_b32 s50, vcc_lo, exec_lo
	s_or_b32 s48, s48, s50
	s_branch .LBB40_71
.LBB40_74:                              ;   in Loop: Header=BB40_10 Depth=2
	s_inst_prefetch 0x2
	s_or_b32 exec_lo, exec_lo, s46
	s_mov_b32 s46, s44
                                        ; implicit-def: $vgpr11_vgpr12
	s_and_saveexec_b32 s47, s45
	s_xor_b32 s45, exec_lo, s47
	s_cbranch_execz .LBB40_76
; %bb.75:                               ;   in Loop: Header=BB40_10 Depth=2
	v_lshlrev_b64 v[7:8], 3, v[8:9]
	s_or_b32 s46, s44, exec_lo
	v_add_co_u32 v11, vcc_lo, s22, v7
	v_add_co_ci_u32_e64 v12, null, s23, v8, vcc_lo
	global_store_dword v[11:12], v26, off
.LBB40_76:                              ;   in Loop: Header=BB40_10 Depth=2
	s_or_b32 exec_lo, exec_lo, s45
	s_andn2_b32 s45, s44, exec_lo
	s_and_b32 s46, s46, exec_lo
	s_or_b32 s45, s45, s46
.LBB40_77:                              ;   in Loop: Header=BB40_10 Depth=2
	s_or_b32 exec_lo, exec_lo, s2
	s_andn2_b32 s2, s44, exec_lo
	s_and_b32 s44, s45, exec_lo
	s_or_b32 s44, s2, s44
	s_or_b32 exec_lo, exec_lo, s1
	s_and_b32 exec_lo, exec_lo, s44
	s_cbranch_execz .LBB40_9
.LBB40_78:                              ;   in Loop: Header=BB40_10 Depth=2
	global_store_dword v[11:12], v5, off offset:4
	s_branch .LBB40_9
.LBB40_79:
	s_or_b32 exec_lo, exec_lo, s40
.LBB40_80:
	s_or_b32 exec_lo, exec_lo, s35
.LBB40_81:
	s_or_b32 exec_lo, exec_lo, s33
	v_mbcnt_lo_u32_b32 v1, -1, 0
	s_mov_b32 s0, exec_lo
	v_xor_b32_e32 v2, 16, v1
	v_xor_b32_e32 v3, 8, v1
	v_xor_b32_e32 v4, 4, v1
	v_cmp_gt_i32_e32 vcc_lo, 32, v2
	v_cndmask_b32_e32 v2, v1, v2, vcc_lo
	v_cmp_gt_i32_e32 vcc_lo, 32, v3
	v_lshlrev_b32_e32 v2, 2, v2
	v_cndmask_b32_e32 v3, v1, v3, vcc_lo
	ds_bpermute_b32 v2, v2, v17
	v_lshlrev_b32_e32 v3, 2, v3
	s_waitcnt lgkmcnt(0)
	v_cmp_lt_f32_e32 vcc_lo, v17, v2
	v_cndmask_b32_e32 v2, v17, v2, vcc_lo
	v_cmp_gt_i32_e32 vcc_lo, 32, v4
	ds_bpermute_b32 v3, v3, v2
	v_cndmask_b32_e32 v4, v1, v4, vcc_lo
	v_lshlrev_b32_e32 v4, 2, v4
	s_waitcnt lgkmcnt(0)
	v_cmp_lt_f32_e32 vcc_lo, v2, v3
	v_cndmask_b32_e32 v2, v2, v3, vcc_lo
	ds_bpermute_b32 v3, v4, v2
	v_xor_b32_e32 v4, 2, v1
	v_cmp_gt_i32_e32 vcc_lo, 32, v4
	v_cndmask_b32_e32 v4, v1, v4, vcc_lo
	v_lshlrev_b32_e32 v4, 2, v4
	s_waitcnt lgkmcnt(0)
	v_cmp_lt_f32_e32 vcc_lo, v2, v3
	v_cndmask_b32_e32 v2, v2, v3, vcc_lo
	ds_bpermute_b32 v3, v4, v2
	v_xor_b32_e32 v4, 1, v1
	v_cmp_gt_i32_e32 vcc_lo, 32, v4
	v_cndmask_b32_e32 v4, v1, v4, vcc_lo
	s_waitcnt lgkmcnt(0)
	v_cmp_lt_f32_e32 vcc_lo, v2, v3
	v_cndmask_b32_e32 v1, v2, v3, vcc_lo
	v_lshlrev_b32_e32 v2, 2, v4
	ds_bpermute_b32 v2, v2, v1
	v_cmpx_eq_u32_e32 31, v16
	s_cbranch_execz .LBB40_83
; %bb.82:
	s_waitcnt lgkmcnt(0)
	v_cmp_lt_f32_e32 vcc_lo, v1, v2
	v_lshlrev_b32_e32 v3, 2, v15
	v_cndmask_b32_e32 v1, v1, v2, vcc_lo
	ds_write_b32 v3, v1
.LBB40_83:
	s_or_b32 exec_lo, exec_lo, s0
	v_lshlrev_b32_e32 v1, 2, v0
	s_mov_b32 s0, exec_lo
	s_waitcnt lgkmcnt(0)
	s_waitcnt_vscnt null, 0x0
	s_barrier
	buffer_gl0_inv
	v_cmpx_gt_u32_e32 16, v0
	s_cbranch_execz .LBB40_85
; %bb.84:
	ds_read2_b32 v[2:3], v1 offset1:16
	s_waitcnt lgkmcnt(0)
	v_cmp_lt_f32_e32 vcc_lo, v2, v3
	v_cndmask_b32_e32 v2, v2, v3, vcc_lo
	ds_write_b32 v1, v2
.LBB40_85:
	s_or_b32 exec_lo, exec_lo, s0
	s_mov_b32 s0, exec_lo
	s_waitcnt lgkmcnt(0)
	s_barrier
	buffer_gl0_inv
	v_cmpx_gt_u32_e32 8, v0
	s_cbranch_execz .LBB40_87
; %bb.86:
	ds_read2_b32 v[2:3], v1 offset1:8
	s_waitcnt lgkmcnt(0)
	v_cmp_lt_f32_e32 vcc_lo, v2, v3
	v_cndmask_b32_e32 v2, v2, v3, vcc_lo
	ds_write_b32 v1, v2
.LBB40_87:
	s_or_b32 exec_lo, exec_lo, s0
	s_mov_b32 s0, exec_lo
	s_waitcnt lgkmcnt(0)
	;; [unrolled: 14-line block ×3, first 2 shown]
	s_barrier
	buffer_gl0_inv
	v_cmpx_gt_u32_e32 2, v0
	s_cbranch_execz .LBB40_91
; %bb.90:
	ds_read2_b32 v[2:3], v1 offset1:2
	s_waitcnt lgkmcnt(0)
	v_cmp_lt_f32_e32 vcc_lo, v2, v3
	v_cndmask_b32_e32 v2, v2, v3, vcc_lo
	ds_write_b32 v1, v2
.LBB40_91:
	s_or_b32 exec_lo, exec_lo, s0
	v_cmp_eq_u32_e32 vcc_lo, 0, v0
	s_waitcnt lgkmcnt(0)
	s_barrier
	buffer_gl0_inv
	s_and_saveexec_b32 s1, vcc_lo
	s_cbranch_execz .LBB40_93
; %bb.92:
	v_mov_b32_e32 v2, 0
	ds_read_b64 v[0:1], v2
	s_waitcnt lgkmcnt(0)
	v_cmp_lt_f32_e64 s0, v0, v1
	v_cndmask_b32_e64 v0, v0, v1, s0
	ds_write_b32 v2, v0
.LBB40_93:
	s_or_b32 exec_lo, exec_lo, s1
	s_waitcnt lgkmcnt(0)
	s_barrier
	buffer_gl0_inv
	s_and_saveexec_b32 s0, vcc_lo
	s_cbranch_execz .LBB40_97
; %bb.94:
	v_mbcnt_lo_u32_b32 v0, exec_lo, 0
	s_mov_b32 s6, 0
	v_cmp_eq_u32_e32 vcc_lo, 0, v0
	s_and_b32 exec_lo, exec_lo, vcc_lo
	s_cbranch_execz .LBB40_97
; %bb.95:
	s_load_dwordx4 s[0:3], s[4:5], 0x88
	v_mov_b32_e32 v2, 0
	s_waitcnt lgkmcnt(0)
	s_clause 0x1
	global_load_dword v0, v2, s[2:3]
	global_load_dword v1, v2, s[0:1]
	ds_read_b32 v3, v2
	s_waitcnt vmcnt(1) lgkmcnt(0)
	v_div_scale_f32 v4, null, v0, v0, v3
	v_rcp_f32_e32 v5, v4
	v_fma_f32 v6, -v4, v5, 1.0
	v_fmac_f32_e32 v5, v6, v5
	v_div_scale_f32 v6, vcc_lo, v3, v0, v3
	v_mul_f32_e32 v7, v6, v5
	v_fma_f32 v8, -v4, v7, v6
	v_fmac_f32_e32 v7, v8, v5
	v_fma_f32 v4, -v4, v7, v6
	v_div_fmas_f32 v4, v4, v5, v7
	v_div_fixup_f32 v0, v4, v0, v3
	v_max_f32_e32 v3, v0, v0
.LBB40_96:                              ; =>This Inner Loop Header: Depth=1
	s_waitcnt vmcnt(0)
	v_max_f32_e32 v0, v1, v1
	v_max_f32_e32 v0, v0, v3
	global_atomic_cmpswap v0, v2, v[0:1], s[0:1] glc
	s_waitcnt vmcnt(0)
	v_cmp_eq_u32_e32 vcc_lo, v0, v1
	v_mov_b32_e32 v1, v0
	s_or_b32 s6, vcc_lo, s6
	s_andn2_b32 exec_lo, exec_lo, s6
	s_cbranch_execnz .LBB40_96
.LBB40_97:
	s_endpgm
	.section	.rodata,"a",@progbits
	.p2align	6, 0x0
	.amdhsa_kernel _ZN9rocsparseL17kernel_correctionILi1024ELi32E21rocsparse_complex_numIfEiiEEvT3_T2_PKS4_S6_PKS3_PKT1_21rocsparse_index_base_S6_S6_S8_PS9_SC_S6_S6_S8_SD_SC_SD_PNS_15floating_traitsIS9_E6data_tEPKSG_
		.amdhsa_group_segment_fixed_size 128
		.amdhsa_private_segment_fixed_size 0
		.amdhsa_kernarg_size 152
		.amdhsa_user_sgpr_count 6
		.amdhsa_user_sgpr_private_segment_buffer 1
		.amdhsa_user_sgpr_dispatch_ptr 0
		.amdhsa_user_sgpr_queue_ptr 0
		.amdhsa_user_sgpr_kernarg_segment_ptr 1
		.amdhsa_user_sgpr_dispatch_id 0
		.amdhsa_user_sgpr_flat_scratch_init 0
		.amdhsa_user_sgpr_private_segment_size 0
		.amdhsa_wavefront_size32 1
		.amdhsa_uses_dynamic_stack 0
		.amdhsa_system_sgpr_private_segment_wavefront_offset 0
		.amdhsa_system_sgpr_workgroup_id_x 1
		.amdhsa_system_sgpr_workgroup_id_y 0
		.amdhsa_system_sgpr_workgroup_id_z 0
		.amdhsa_system_sgpr_workgroup_info 0
		.amdhsa_system_vgpr_workitem_id 0
		.amdhsa_next_free_vgpr 35
		.amdhsa_next_free_sgpr 52
		.amdhsa_reserve_vcc 1
		.amdhsa_reserve_flat_scratch 0
		.amdhsa_float_round_mode_32 0
		.amdhsa_float_round_mode_16_64 0
		.amdhsa_float_denorm_mode_32 3
		.amdhsa_float_denorm_mode_16_64 3
		.amdhsa_dx10_clamp 1
		.amdhsa_ieee_mode 1
		.amdhsa_fp16_overflow 0
		.amdhsa_workgroup_processor_mode 1
		.amdhsa_memory_ordered 1
		.amdhsa_forward_progress 1
		.amdhsa_shared_vgpr_count 0
		.amdhsa_exception_fp_ieee_invalid_op 0
		.amdhsa_exception_fp_denorm_src 0
		.amdhsa_exception_fp_ieee_div_zero 0
		.amdhsa_exception_fp_ieee_overflow 0
		.amdhsa_exception_fp_ieee_underflow 0
		.amdhsa_exception_fp_ieee_inexact 0
		.amdhsa_exception_int_div_zero 0
	.end_amdhsa_kernel
	.section	.text._ZN9rocsparseL17kernel_correctionILi1024ELi32E21rocsparse_complex_numIfEiiEEvT3_T2_PKS4_S6_PKS3_PKT1_21rocsparse_index_base_S6_S6_S8_PS9_SC_S6_S6_S8_SD_SC_SD_PNS_15floating_traitsIS9_E6data_tEPKSG_,"axG",@progbits,_ZN9rocsparseL17kernel_correctionILi1024ELi32E21rocsparse_complex_numIfEiiEEvT3_T2_PKS4_S6_PKS3_PKT1_21rocsparse_index_base_S6_S6_S8_PS9_SC_S6_S6_S8_SD_SC_SD_PNS_15floating_traitsIS9_E6data_tEPKSG_,comdat
.Lfunc_end40:
	.size	_ZN9rocsparseL17kernel_correctionILi1024ELi32E21rocsparse_complex_numIfEiiEEvT3_T2_PKS4_S6_PKS3_PKT1_21rocsparse_index_base_S6_S6_S8_PS9_SC_S6_S6_S8_SD_SC_SD_PNS_15floating_traitsIS9_E6data_tEPKSG_, .Lfunc_end40-_ZN9rocsparseL17kernel_correctionILi1024ELi32E21rocsparse_complex_numIfEiiEEvT3_T2_PKS4_S6_PKS3_PKT1_21rocsparse_index_base_S6_S6_S8_PS9_SC_S6_S6_S8_SD_SC_SD_PNS_15floating_traitsIS9_E6data_tEPKSG_
                                        ; -- End function
	.set _ZN9rocsparseL17kernel_correctionILi1024ELi32E21rocsparse_complex_numIfEiiEEvT3_T2_PKS4_S6_PKS3_PKT1_21rocsparse_index_base_S6_S6_S8_PS9_SC_S6_S6_S8_SD_SC_SD_PNS_15floating_traitsIS9_E6data_tEPKSG_.num_vgpr, 35
	.set _ZN9rocsparseL17kernel_correctionILi1024ELi32E21rocsparse_complex_numIfEiiEEvT3_T2_PKS4_S6_PKS3_PKT1_21rocsparse_index_base_S6_S6_S8_PS9_SC_S6_S6_S8_SD_SC_SD_PNS_15floating_traitsIS9_E6data_tEPKSG_.num_agpr, 0
	.set _ZN9rocsparseL17kernel_correctionILi1024ELi32E21rocsparse_complex_numIfEiiEEvT3_T2_PKS4_S6_PKS3_PKT1_21rocsparse_index_base_S6_S6_S8_PS9_SC_S6_S6_S8_SD_SC_SD_PNS_15floating_traitsIS9_E6data_tEPKSG_.numbered_sgpr, 52
	.set _ZN9rocsparseL17kernel_correctionILi1024ELi32E21rocsparse_complex_numIfEiiEEvT3_T2_PKS4_S6_PKS3_PKT1_21rocsparse_index_base_S6_S6_S8_PS9_SC_S6_S6_S8_SD_SC_SD_PNS_15floating_traitsIS9_E6data_tEPKSG_.num_named_barrier, 0
	.set _ZN9rocsparseL17kernel_correctionILi1024ELi32E21rocsparse_complex_numIfEiiEEvT3_T2_PKS4_S6_PKS3_PKT1_21rocsparse_index_base_S6_S6_S8_PS9_SC_S6_S6_S8_SD_SC_SD_PNS_15floating_traitsIS9_E6data_tEPKSG_.private_seg_size, 0
	.set _ZN9rocsparseL17kernel_correctionILi1024ELi32E21rocsparse_complex_numIfEiiEEvT3_T2_PKS4_S6_PKS3_PKT1_21rocsparse_index_base_S6_S6_S8_PS9_SC_S6_S6_S8_SD_SC_SD_PNS_15floating_traitsIS9_E6data_tEPKSG_.uses_vcc, 1
	.set _ZN9rocsparseL17kernel_correctionILi1024ELi32E21rocsparse_complex_numIfEiiEEvT3_T2_PKS4_S6_PKS3_PKT1_21rocsparse_index_base_S6_S6_S8_PS9_SC_S6_S6_S8_SD_SC_SD_PNS_15floating_traitsIS9_E6data_tEPKSG_.uses_flat_scratch, 0
	.set _ZN9rocsparseL17kernel_correctionILi1024ELi32E21rocsparse_complex_numIfEiiEEvT3_T2_PKS4_S6_PKS3_PKT1_21rocsparse_index_base_S6_S6_S8_PS9_SC_S6_S6_S8_SD_SC_SD_PNS_15floating_traitsIS9_E6data_tEPKSG_.has_dyn_sized_stack, 0
	.set _ZN9rocsparseL17kernel_correctionILi1024ELi32E21rocsparse_complex_numIfEiiEEvT3_T2_PKS4_S6_PKS3_PKT1_21rocsparse_index_base_S6_S6_S8_PS9_SC_S6_S6_S8_SD_SC_SD_PNS_15floating_traitsIS9_E6data_tEPKSG_.has_recursion, 0
	.set _ZN9rocsparseL17kernel_correctionILi1024ELi32E21rocsparse_complex_numIfEiiEEvT3_T2_PKS4_S6_PKS3_PKT1_21rocsparse_index_base_S6_S6_S8_PS9_SC_S6_S6_S8_SD_SC_SD_PNS_15floating_traitsIS9_E6data_tEPKSG_.has_indirect_call, 0
	.section	.AMDGPU.csdata,"",@progbits
; Kernel info:
; codeLenInByte = 4344
; TotalNumSgprs: 54
; NumVgprs: 35
; ScratchSize: 0
; MemoryBound: 0
; FloatMode: 240
; IeeeMode: 1
; LDSByteSize: 128 bytes/workgroup (compile time only)
; SGPRBlocks: 0
; VGPRBlocks: 4
; NumSGPRsForWavesPerEU: 54
; NumVGPRsForWavesPerEU: 35
; Occupancy: 16
; WaveLimiterHint : 1
; COMPUTE_PGM_RSRC2:SCRATCH_EN: 0
; COMPUTE_PGM_RSRC2:USER_SGPR: 6
; COMPUTE_PGM_RSRC2:TRAP_HANDLER: 0
; COMPUTE_PGM_RSRC2:TGID_X_EN: 1
; COMPUTE_PGM_RSRC2:TGID_Y_EN: 0
; COMPUTE_PGM_RSRC2:TGID_Z_EN: 0
; COMPUTE_PGM_RSRC2:TIDIG_COMP_CNT: 0
	.section	.text._ZN9rocsparseL17kernel_correctionILi1024ELi64E21rocsparse_complex_numIfEiiEEvT3_T2_PKS4_S6_PKS3_PKT1_21rocsparse_index_base_S6_S6_S8_PS9_SC_S6_S6_S8_SD_SC_SD_PNS_15floating_traitsIS9_E6data_tEPKSG_,"axG",@progbits,_ZN9rocsparseL17kernel_correctionILi1024ELi64E21rocsparse_complex_numIfEiiEEvT3_T2_PKS4_S6_PKS3_PKT1_21rocsparse_index_base_S6_S6_S8_PS9_SC_S6_S6_S8_SD_SC_SD_PNS_15floating_traitsIS9_E6data_tEPKSG_,comdat
	.globl	_ZN9rocsparseL17kernel_correctionILi1024ELi64E21rocsparse_complex_numIfEiiEEvT3_T2_PKS4_S6_PKS3_PKT1_21rocsparse_index_base_S6_S6_S8_PS9_SC_S6_S6_S8_SD_SC_SD_PNS_15floating_traitsIS9_E6data_tEPKSG_ ; -- Begin function _ZN9rocsparseL17kernel_correctionILi1024ELi64E21rocsparse_complex_numIfEiiEEvT3_T2_PKS4_S6_PKS3_PKT1_21rocsparse_index_base_S6_S6_S8_PS9_SC_S6_S6_S8_SD_SC_SD_PNS_15floating_traitsIS9_E6data_tEPKSG_
	.p2align	8
	.type	_ZN9rocsparseL17kernel_correctionILi1024ELi64E21rocsparse_complex_numIfEiiEEvT3_T2_PKS4_S6_PKS3_PKT1_21rocsparse_index_base_S6_S6_S8_PS9_SC_S6_S6_S8_SD_SC_SD_PNS_15floating_traitsIS9_E6data_tEPKSG_,@function
_ZN9rocsparseL17kernel_correctionILi1024ELi64E21rocsparse_complex_numIfEiiEEvT3_T2_PKS4_S6_PKS3_PKT1_21rocsparse_index_base_S6_S6_S8_PS9_SC_S6_S6_S8_SD_SC_SD_PNS_15floating_traitsIS9_E6data_tEPKSG_: ; @_ZN9rocsparseL17kernel_correctionILi1024ELi64E21rocsparse_complex_numIfEiiEEvT3_T2_PKS4_S6_PKS3_PKT1_21rocsparse_index_base_S6_S6_S8_PS9_SC_S6_S6_S8_SD_SC_SD_PNS_15floating_traitsIS9_E6data_tEPKSG_
; %bb.0:
	s_load_dword s34, s[4:5], 0x0
	v_lshrrev_b32_e32 v15, 6, v0
	s_lshl_b32 s36, s6, 10
	v_and_b32_e32 v16, 63, v0
	v_mov_b32_e32 v17, 0
	s_mov_b32 s33, exec_lo
	v_or_b32_e32 v1, s36, v15
	s_waitcnt lgkmcnt(0)
	v_cmpx_gt_i32_e64 s34, v1
	s_cbranch_execz .LBB41_81
; %bb.1:
	v_mov_b32_e32 v17, 0
	s_addk_i32 s36, 0x400
	s_mov_b32 s35, exec_lo
	v_cmpx_gt_u32_e64 s36, v1
	s_cbranch_execz .LBB41_80
; %bb.2:
	s_clause 0x6
	s_load_dword s37, s[4:5], 0x28
	s_load_dwordx8 s[8:15], s[4:5], 0x58
	s_load_dwordx8 s[16:23], s[4:5], 0x30
	s_load_dwordx8 s[24:31], s[4:5], 0x8
	s_load_dword s38, s[4:5], 0x50
	s_load_dwordx2 s[6:7], s[4:5], 0x80
	s_load_dword s39, s[4:5], 0x78
	v_mov_b32_e32 v3, 0
	v_mov_b32_e32 v17, 0
	s_mov_b32 s40, 0
	s_waitcnt lgkmcnt(0)
	v_subrev_nc_u32_e32 v18, s37, v16
	s_branch .LBB41_6
.LBB41_3:                               ;   in Loop: Header=BB41_6 Depth=1
	s_or_b32 exec_lo, exec_lo, s43
.LBB41_4:                               ;   in Loop: Header=BB41_6 Depth=1
	s_or_b32 exec_lo, exec_lo, s42
.LBB41_5:                               ;   in Loop: Header=BB41_6 Depth=1
	s_or_b32 exec_lo, exec_lo, s41
	v_add_nc_u32_e32 v1, 16, v1
	v_cmp_le_u32_e32 vcc_lo, s36, v1
	s_or_b32 s40, vcc_lo, s40
	s_andn2_b32 exec_lo, exec_lo, s40
	s_cbranch_execz .LBB41_79
.LBB41_6:                               ; =>This Loop Header: Depth=1
                                        ;     Child Loop BB41_10 Depth 2
                                        ;       Child Loop BB41_14 Depth 3
                                        ;       Child Loop BB41_36 Depth 3
	;; [unrolled: 1-line block ×5, first 2 shown]
	s_mov_b32 s41, exec_lo
	v_cmpx_gt_i32_e64 s34, v1
	s_cbranch_execz .LBB41_5
; %bb.7:                                ;   in Loop: Header=BB41_6 Depth=1
	v_ashrrev_i32_e32 v2, 31, v1
	s_mov_b32 s42, exec_lo
	v_lshlrev_b64 v[5:6], 2, v[1:2]
	v_add_co_u32 v7, vcc_lo, s24, v5
	v_add_co_ci_u32_e64 v8, null, s25, v6, vcc_lo
	v_add_co_u32 v9, vcc_lo, s26, v5
	v_add_co_ci_u32_e64 v10, null, s27, v6, vcc_lo
	global_load_dword v2, v[7:8], off
	global_load_dword v7, v[9:10], off
	s_waitcnt vmcnt(1)
	v_add_nc_u32_e32 v4, v18, v2
	s_waitcnt vmcnt(0)
	v_subrev_nc_u32_e32 v19, s37, v7
	v_cmpx_lt_i32_e64 v4, v19
	s_cbranch_execz .LBB41_4
; %bb.8:                                ;   in Loop: Header=BB41_6 Depth=1
	v_add_co_u32 v7, vcc_lo, s16, v5
	v_add_co_ci_u32_e64 v8, null, s17, v6, vcc_lo
	v_add_co_u32 v5, vcc_lo, s18, v5
	v_add_co_ci_u32_e64 v6, null, s19, v6, vcc_lo
	global_load_dword v2, v[7:8], off
	s_mov_b32 s43, 0
	global_load_dword v5, v[5:6], off
	s_waitcnt vmcnt(1)
	v_subrev_nc_u32_e32 v6, s38, v2
	s_waitcnt vmcnt(0)
	v_sub_nc_u32_e32 v20, v5, v2
	v_ashrrev_i32_e32 v7, 31, v6
	v_cmp_lt_i32_e64 s0, 0, v20
	v_lshlrev_b64 v[8:9], 2, v[6:7]
	v_lshlrev_b64 v[10:11], 3, v[6:7]
	v_add_co_u32 v21, vcc_lo, s20, v8
	v_add_co_ci_u32_e64 v22, null, s21, v9, vcc_lo
	v_add_co_u32 v23, vcc_lo, s22, v10
	v_add_co_ci_u32_e64 v24, null, s23, v11, vcc_lo
	s_branch .LBB41_10
.LBB41_9:                               ;   in Loop: Header=BB41_10 Depth=2
	s_or_b32 exec_lo, exec_lo, s3
	v_add_nc_u32_e32 v4, 64, v4
	v_cmp_nlg_f32_e64 s2, 0x7f800000, |v13|
	v_cmp_gt_f32_e32 vcc_lo, v17, v13
	v_cmp_ge_i32_e64 s1, v4, v19
	s_or_b32 vcc_lo, s2, vcc_lo
	v_cndmask_b32_e32 v17, v13, v17, vcc_lo
	s_or_b32 s43, s1, s43
	s_andn2_b32 exec_lo, exec_lo, s43
	s_cbranch_execz .LBB41_3
.LBB41_10:                              ;   Parent Loop BB41_6 Depth=1
                                        ; =>  This Loop Header: Depth=2
                                        ;       Child Loop BB41_14 Depth 3
                                        ;       Child Loop BB41_36 Depth 3
	;; [unrolled: 1-line block ×5, first 2 shown]
	v_ashrrev_i32_e32 v5, 31, v4
	v_mov_b32_e32 v27, 0
	v_mov_b32_e32 v28, 0
	v_lshlrev_b64 v[7:8], 2, v[4:5]
	v_add_co_u32 v7, vcc_lo, s28, v7
	v_add_co_ci_u32_e64 v8, null, s29, v8, vcc_lo
	global_load_dword v2, v[7:8], off
	s_waitcnt vmcnt(0)
	v_subrev_nc_u32_e32 v7, s37, v2
	v_mov_b32_e32 v2, 0
	v_ashrrev_i32_e32 v8, 31, v7
	v_lshlrev_b64 v[9:10], 2, v[7:8]
	v_add_co_u32 v11, vcc_lo, s8, v9
	v_add_co_ci_u32_e64 v12, null, s9, v10, vcc_lo
	v_add_co_u32 v9, vcc_lo, s10, v9
	v_add_co_ci_u32_e64 v10, null, s11, v10, vcc_lo
	global_load_dword v11, v[11:12], off
	global_load_dword v10, v[9:10], off
	s_waitcnt vmcnt(1)
	v_subrev_nc_u32_e32 v9, s39, v11
	s_waitcnt vmcnt(0)
	v_sub_nc_u32_e32 v25, v10, v11
	v_mov_b32_e32 v10, v2
	s_and_saveexec_b32 s2, s0
	s_cbranch_execz .LBB41_18
; %bb.11:                               ;   in Loop: Header=BB41_10 Depth=2
	v_ashrrev_i32_e32 v10, 31, v9
	v_mov_b32_e32 v27, 0
	v_mov_b32_e32 v2, 0
	;; [unrolled: 1-line block ×3, first 2 shown]
	s_mov_b32 s3, 0
	v_lshlrev_b64 v[12:13], 2, v[9:10]
	v_lshlrev_b64 v[10:11], 3, v[9:10]
                                        ; implicit-def: $sgpr44
	v_add_co_u32 v12, vcc_lo, s12, v12
	v_add_co_ci_u32_e64 v13, null, s13, v13, vcc_lo
	v_add_co_u32 v14, vcc_lo, s14, v10
	v_add_co_ci_u32_e64 v26, null, s15, v11, vcc_lo
	v_mov_b32_e32 v10, 0
	s_branch .LBB41_14
.LBB41_12:                              ;   in Loop: Header=BB41_14 Depth=3
	s_or_b32 exec_lo, exec_lo, s1
	v_cmp_le_i32_e32 vcc_lo, v29, v30
	v_cmp_ge_i32_e64 s1, v29, v30
	v_add_co_ci_u32_e64 v2, null, 0, v2, vcc_lo
	v_add_co_ci_u32_e64 v10, null, 0, v10, s1
	s_andn2_b32 s1, s44, exec_lo
	v_cmp_ge_i32_e32 vcc_lo, v2, v20
	s_and_b32 s44, vcc_lo, exec_lo
	s_or_b32 s44, s1, s44
.LBB41_13:                              ;   in Loop: Header=BB41_14 Depth=3
	s_or_b32 exec_lo, exec_lo, s45
	s_and_b32 s1, exec_lo, s44
	s_or_b32 s3, s1, s3
	s_andn2_b32 exec_lo, exec_lo, s3
	s_cbranch_execz .LBB41_17
.LBB41_14:                              ;   Parent Loop BB41_6 Depth=1
                                        ;     Parent Loop BB41_10 Depth=2
                                        ; =>    This Inner Loop Header: Depth=3
	s_or_b32 s44, s44, exec_lo
	s_mov_b32 s45, exec_lo
	v_cmpx_lt_i32_e64 v10, v25
	s_cbranch_execz .LBB41_13
; %bb.15:                               ;   in Loop: Header=BB41_14 Depth=3
	v_mov_b32_e32 v11, v3
	v_lshlrev_b64 v[29:30], 2, v[2:3]
	s_mov_b32 s1, exec_lo
	v_lshlrev_b64 v[31:32], 2, v[10:11]
	v_add_co_u32 v29, vcc_lo, v21, v29
	v_add_co_ci_u32_e64 v30, null, v22, v30, vcc_lo
	v_add_co_u32 v31, vcc_lo, v12, v31
	v_add_co_ci_u32_e64 v32, null, v13, v32, vcc_lo
	global_load_dword v29, v[29:30], off
	global_load_dword v30, v[31:32], off
	s_waitcnt vmcnt(1)
	v_subrev_nc_u32_e32 v29, s38, v29
	s_waitcnt vmcnt(0)
	v_subrev_nc_u32_e32 v30, s39, v30
	v_cmpx_eq_u32_e64 v29, v30
	s_cbranch_execz .LBB41_12
; %bb.16:                               ;   in Loop: Header=BB41_14 Depth=3
	v_lshlrev_b64 v[31:32], 3, v[2:3]
	v_lshlrev_b64 v[33:34], 3, v[10:11]
	v_add_co_u32 v31, vcc_lo, v23, v31
	v_add_co_ci_u32_e64 v32, null, v24, v32, vcc_lo
	v_add_co_u32 v33, vcc_lo, v14, v33
	v_add_co_ci_u32_e64 v34, null, v26, v34, vcc_lo
	global_load_dwordx2 v[31:32], v[31:32], off
	global_load_dwordx2 v[33:34], v[33:34], off
	s_waitcnt vmcnt(0)
	v_fmac_f32_e32 v27, v31, v33
	v_fmac_f32_e32 v28, v32, v33
	v_fma_f32 v27, -v32, v34, v27
	v_fmac_f32_e32 v28, v31, v34
	s_branch .LBB41_12
.LBB41_17:                              ;   in Loop: Header=BB41_10 Depth=2
	s_or_b32 exec_lo, exec_lo, s3
.LBB41_18:                              ;   in Loop: Header=BB41_10 Depth=2
	s_or_b32 exec_lo, exec_lo, s2
	v_lshlrev_b64 v[11:12], 3, v[4:5]
	v_cmp_le_i32_e64 s2, v1, v7
	s_mov_b32 s1, exec_lo
	v_add_co_u32 v11, vcc_lo, s30, v11
	v_add_co_ci_u32_e64 v12, null, s31, v12, vcc_lo
	global_load_dwordx2 v[11:12], v[11:12], off
	s_waitcnt vmcnt(0)
	v_sub_f32_e32 v26, v11, v27
	v_sub_f32_e32 v5, v12, v28
	v_cmpx_gt_i32_e64 v1, v7
	s_cbranch_execz .LBB41_20
; %bb.19:                               ;   in Loop: Header=BB41_10 Depth=2
	v_lshlrev_b64 v[13:14], 3, v[7:8]
	v_add_co_u32 v13, vcc_lo, s6, v13
	v_add_co_ci_u32_e64 v14, null, s7, v14, vcc_lo
	global_load_dwordx2 v[13:14], v[13:14], off
	s_waitcnt vmcnt(0)
	v_mul_f32_e32 v29, v14, v14
	v_fmac_f32_e32 v29, v13, v13
	v_div_scale_f32 v30, null, v29, v29, 1.0
	v_div_scale_f32 v33, vcc_lo, 1.0, v29, 1.0
	v_rcp_f32_e32 v31, v30
	v_fma_f32 v32, -v30, v31, 1.0
	v_fmac_f32_e32 v31, v32, v31
	v_mul_f32_e32 v32, v33, v31
	v_fma_f32 v34, -v30, v32, v33
	v_fmac_f32_e32 v32, v34, v31
	v_fma_f32 v30, -v30, v32, v33
	v_div_fmas_f32 v30, v30, v31, v32
	v_mul_f32_e32 v31, v5, v14
	v_mul_f32_e64 v14, v14, -v26
	v_div_fixup_f32 v29, v30, v29, 1.0
	v_fmac_f32_e32 v31, v26, v13
	v_fmac_f32_e32 v14, v5, v13
	v_mul_f32_e32 v26, v31, v29
	v_mul_f32_e32 v5, v14, v29
.LBB41_20:                              ;   in Loop: Header=BB41_10 Depth=2
	s_or_b32 exec_lo, exec_lo, s1
	v_cmp_lt_i32_e64 s1, v10, v25
	s_mov_b32 s3, exec_lo
	v_cmpx_ge_i32_e64 v10, v25
	s_xor_b32 s3, exec_lo, s3
	s_cbranch_execnz .LBB41_33
; %bb.21:                               ;   in Loop: Header=BB41_10 Depth=2
	s_andn2_saveexec_b32 s3, s3
	s_cbranch_execnz .LBB41_49
.LBB41_22:                              ;   in Loop: Header=BB41_10 Depth=2
	s_or_b32 exec_lo, exec_lo, s3
	s_mov_b32 s3, exec_lo
	v_cmpx_eq_u32_e64 v1, v7
	s_cbranch_execz .LBB41_24
.LBB41_23:                              ;   in Loop: Header=BB41_10 Depth=2
	v_lshlrev_b64 v[13:14], 3, v[7:8]
	v_add_co_u32 v13, vcc_lo, s6, v13
	v_add_co_ci_u32_e64 v14, null, s7, v14, vcc_lo
	global_load_dwordx2 v[13:14], v[13:14], off
	s_waitcnt vmcnt(0)
	v_add_f32_e32 v27, v27, v13
	v_add_f32_e32 v28, v28, v14
.LBB41_24:                              ;   in Loop: Header=BB41_10 Depth=2
	s_or_b32 exec_lo, exec_lo, s3
	v_sub_f32_e32 v11, v11, v27
	v_sub_f32_e32 v14, v12, v28
                                        ; implicit-def: $vgpr13
	s_mov_b32 s3, exec_lo
	v_cmp_gt_f32_e32 vcc_lo, 0, v11
	v_cndmask_b32_e64 v11, v11, -v11, vcc_lo
	v_cmp_gt_f32_e32 vcc_lo, 0, v14
	v_cndmask_b32_e64 v12, v14, -v14, vcc_lo
	v_cmpx_ngt_f32_e32 v11, v12
	s_xor_b32 s44, exec_lo, s3
	s_cbranch_execz .LBB41_28
; %bb.25:                               ;   in Loop: Header=BB41_10 Depth=2
	v_mov_b32_e32 v13, 0
	s_mov_b32 s45, exec_lo
	v_cmpx_neq_f32_e32 0, v14
	s_cbranch_execz .LBB41_27
; %bb.26:                               ;   in Loop: Header=BB41_10 Depth=2
	v_div_scale_f32 v13, null, v12, v12, v11
	v_div_scale_f32 v28, vcc_lo, v11, v12, v11
	v_rcp_f32_e32 v14, v13
	v_fma_f32 v27, -v13, v14, 1.0
	v_fmac_f32_e32 v14, v27, v14
	v_mul_f32_e32 v27, v28, v14
	v_fma_f32 v29, -v13, v27, v28
	v_fmac_f32_e32 v27, v29, v14
	v_fma_f32 v13, -v13, v27, v28
	v_div_fmas_f32 v13, v13, v14, v27
	v_div_fixup_f32 v11, v13, v12, v11
	v_fma_f32 v11, v11, v11, 1.0
	v_mul_f32_e32 v13, 0x4f800000, v11
	v_cmp_gt_f32_e32 vcc_lo, 0xf800000, v11
	v_cndmask_b32_e32 v11, v11, v13, vcc_lo
	v_sqrt_f32_e32 v13, v11
	v_add_nc_u32_e32 v14, -1, v13
	v_add_nc_u32_e32 v27, 1, v13
	v_fma_f32 v28, -v14, v13, v11
	v_fma_f32 v29, -v27, v13, v11
	v_cmp_ge_f32_e64 s3, 0, v28
	v_cndmask_b32_e64 v13, v13, v14, s3
	v_cmp_lt_f32_e64 s3, 0, v29
	v_cndmask_b32_e64 v13, v13, v27, s3
	v_mul_f32_e32 v14, 0x37800000, v13
	v_cndmask_b32_e32 v13, v13, v14, vcc_lo
	v_cmp_class_f32_e64 vcc_lo, v11, 0x260
	v_cndmask_b32_e32 v11, v13, v11, vcc_lo
	v_mul_f32_e32 v13, v12, v11
.LBB41_27:                              ;   in Loop: Header=BB41_10 Depth=2
	s_or_b32 exec_lo, exec_lo, s45
                                        ; implicit-def: $vgpr11
                                        ; implicit-def: $vgpr12
.LBB41_28:                              ;   in Loop: Header=BB41_10 Depth=2
	s_andn2_saveexec_b32 s44, s44
	s_cbranch_execz .LBB41_30
; %bb.29:                               ;   in Loop: Header=BB41_10 Depth=2
	v_div_scale_f32 v13, null, v11, v11, v12
	v_div_scale_f32 v28, vcc_lo, v12, v11, v12
	v_rcp_f32_e32 v14, v13
	v_fma_f32 v27, -v13, v14, 1.0
	v_fmac_f32_e32 v14, v27, v14
	v_mul_f32_e32 v27, v28, v14
	v_fma_f32 v29, -v13, v27, v28
	v_fmac_f32_e32 v27, v29, v14
	v_fma_f32 v13, -v13, v27, v28
	v_div_fmas_f32 v13, v13, v14, v27
	v_div_fixup_f32 v12, v13, v11, v12
	v_fma_f32 v12, v12, v12, 1.0
	v_mul_f32_e32 v13, 0x4f800000, v12
	v_cmp_gt_f32_e32 vcc_lo, 0xf800000, v12
	v_cndmask_b32_e32 v12, v12, v13, vcc_lo
	v_sqrt_f32_e32 v13, v12
	v_add_nc_u32_e32 v14, -1, v13
	v_add_nc_u32_e32 v27, 1, v13
	v_fma_f32 v28, -v14, v13, v12
	v_fma_f32 v29, -v27, v13, v12
	v_cmp_ge_f32_e64 s3, 0, v28
	v_cndmask_b32_e64 v13, v13, v14, s3
	v_cmp_lt_f32_e64 s3, 0, v29
	v_cndmask_b32_e64 v13, v13, v27, s3
	v_mul_f32_e32 v14, 0x37800000, v13
	v_cndmask_b32_e32 v13, v13, v14, vcc_lo
	v_cmp_class_f32_e64 vcc_lo, v12, 0x260
	v_cndmask_b32_e32 v12, v13, v12, vcc_lo
	v_mul_f32_e32 v13, v11, v12
.LBB41_30:                              ;   in Loop: Header=BB41_10 Depth=2
	s_or_b32 exec_lo, exec_lo, s44
	v_cmp_gt_f32_e32 vcc_lo, 0, v26
                                        ; implicit-def: $vgpr14
	s_mov_b32 s3, exec_lo
	v_cndmask_b32_e64 v11, v26, -v26, vcc_lo
	v_cmp_gt_f32_e32 vcc_lo, 0, v5
	v_cndmask_b32_e64 v12, v5, -v5, vcc_lo
	v_cmpx_ngt_f32_e32 v11, v12
	s_xor_b32 s44, exec_lo, s3
	s_cbranch_execnz .LBB41_38
; %bb.31:                               ;   in Loop: Header=BB41_10 Depth=2
	s_andn2_saveexec_b32 s44, s44
	s_cbranch_execnz .LBB41_41
.LBB41_32:                              ;   in Loop: Header=BB41_10 Depth=2
	s_or_b32 exec_lo, exec_lo, s44
	v_cmp_class_f32_e64 s44, v14, 0x1f8
	s_and_saveexec_b32 s3, s44
	s_cbranch_execz .LBB41_9
	s_branch .LBB41_42
.LBB41_33:                              ;   in Loop: Header=BB41_10 Depth=2
	s_mov_b32 s44, exec_lo
	v_cmpx_lt_i32_e64 v2, v20
	s_cbranch_execz .LBB41_48
; %bb.34:                               ;   in Loop: Header=BB41_10 Depth=2
	v_mov_b32_e32 v29, v2
	s_mov_b32 s46, 0
                                        ; implicit-def: $sgpr45
                                        ; implicit-def: $sgpr48
                                        ; implicit-def: $sgpr47
	s_inst_prefetch 0x1
	s_branch .LBB41_36
	.p2align	6
.LBB41_35:                              ;   in Loop: Header=BB41_36 Depth=3
	s_or_b32 exec_lo, exec_lo, s49
	s_and_b32 s49, exec_lo, s48
	s_or_b32 s46, s49, s46
	s_andn2_b32 s45, s45, exec_lo
	s_and_b32 s49, s47, exec_lo
	s_or_b32 s45, s45, s49
	s_andn2_b32 exec_lo, exec_lo, s46
	s_cbranch_execz .LBB41_45
.LBB41_36:                              ;   Parent Loop BB41_6 Depth=1
                                        ;     Parent Loop BB41_10 Depth=2
                                        ; =>    This Inner Loop Header: Depth=3
	v_add_nc_u32_e32 v13, v6, v29
	s_or_b32 s47, s47, exec_lo
	s_or_b32 s48, s48, exec_lo
	s_mov_b32 s49, exec_lo
	v_ashrrev_i32_e32 v14, 31, v13
	v_lshlrev_b64 v[30:31], 2, v[13:14]
	v_add_co_u32 v30, vcc_lo, s20, v30
	v_add_co_ci_u32_e64 v31, null, s21, v31, vcc_lo
	global_load_dword v30, v[30:31], off
	s_waitcnt vmcnt(0)
	v_subrev_nc_u32_e32 v30, s38, v30
	v_cmpx_ne_u32_e64 v30, v7
	s_cbranch_execz .LBB41_35
; %bb.37:                               ;   in Loop: Header=BB41_36 Depth=3
	v_add_nc_u32_e32 v29, 1, v29
	s_andn2_b32 s48, s48, exec_lo
	s_andn2_b32 s47, s47, exec_lo
	v_cmp_ge_i32_e32 vcc_lo, v29, v20
	s_and_b32 s50, vcc_lo, exec_lo
	s_or_b32 s48, s48, s50
	s_branch .LBB41_35
.LBB41_38:                              ;   in Loop: Header=BB41_10 Depth=2
	v_mov_b32_e32 v14, 0
	s_mov_b32 s45, exec_lo
	v_cmpx_neq_f32_e32 0, v5
	s_cbranch_execz .LBB41_40
; %bb.39:                               ;   in Loop: Header=BB41_10 Depth=2
	v_div_scale_f32 v14, null, v12, v12, v11
	v_div_scale_f32 v29, vcc_lo, v11, v12, v11
	v_rcp_f32_e32 v27, v14
	v_fma_f32 v28, -v14, v27, 1.0
	v_fmac_f32_e32 v27, v28, v27
	v_mul_f32_e32 v28, v29, v27
	v_fma_f32 v30, -v14, v28, v29
	v_fmac_f32_e32 v28, v30, v27
	v_fma_f32 v14, -v14, v28, v29
	v_div_fmas_f32 v14, v14, v27, v28
	v_div_fixup_f32 v11, v14, v12, v11
	v_fma_f32 v11, v11, v11, 1.0
	v_mul_f32_e32 v14, 0x4f800000, v11
	v_cmp_gt_f32_e32 vcc_lo, 0xf800000, v11
	v_cndmask_b32_e32 v11, v11, v14, vcc_lo
	v_sqrt_f32_e32 v14, v11
	v_add_nc_u32_e32 v27, -1, v14
	v_add_nc_u32_e32 v28, 1, v14
	v_fma_f32 v29, -v27, v14, v11
	v_fma_f32 v30, -v28, v14, v11
	v_cmp_ge_f32_e64 s3, 0, v29
	v_cndmask_b32_e64 v14, v14, v27, s3
	v_cmp_lt_f32_e64 s3, 0, v30
	v_cndmask_b32_e64 v14, v14, v28, s3
	v_mul_f32_e32 v27, 0x37800000, v14
	v_cndmask_b32_e32 v14, v14, v27, vcc_lo
	v_cmp_class_f32_e64 vcc_lo, v11, 0x260
	v_cndmask_b32_e32 v11, v14, v11, vcc_lo
	v_mul_f32_e32 v14, v12, v11
.LBB41_40:                              ;   in Loop: Header=BB41_10 Depth=2
	s_or_b32 exec_lo, exec_lo, s45
                                        ; implicit-def: $vgpr11
                                        ; implicit-def: $vgpr12
	s_andn2_saveexec_b32 s44, s44
	s_cbranch_execz .LBB41_32
.LBB41_41:                              ;   in Loop: Header=BB41_10 Depth=2
	v_div_scale_f32 v14, null, v11, v11, v12
	v_div_scale_f32 v29, vcc_lo, v12, v11, v12
	v_rcp_f32_e32 v27, v14
	v_fma_f32 v28, -v14, v27, 1.0
	v_fmac_f32_e32 v27, v28, v27
	v_mul_f32_e32 v28, v29, v27
	v_fma_f32 v30, -v14, v28, v29
	v_fmac_f32_e32 v28, v30, v27
	v_fma_f32 v14, -v14, v28, v29
	v_div_fmas_f32 v14, v14, v27, v28
	v_div_fixup_f32 v12, v14, v11, v12
	v_fma_f32 v12, v12, v12, 1.0
	v_mul_f32_e32 v14, 0x4f800000, v12
	v_cmp_gt_f32_e32 vcc_lo, 0xf800000, v12
	v_cndmask_b32_e32 v12, v12, v14, vcc_lo
	v_sqrt_f32_e32 v14, v12
	v_add_nc_u32_e32 v27, -1, v14
	v_add_nc_u32_e32 v28, 1, v14
	v_fma_f32 v29, -v27, v14, v12
	v_fma_f32 v30, -v28, v14, v12
	v_cmp_ge_f32_e64 s3, 0, v29
	v_cndmask_b32_e64 v14, v14, v27, s3
	v_cmp_lt_f32_e64 s3, 0, v30
	v_cndmask_b32_e64 v14, v14, v28, s3
	v_mul_f32_e32 v27, 0x37800000, v14
	v_cndmask_b32_e32 v14, v14, v27, vcc_lo
	v_cmp_class_f32_e64 vcc_lo, v12, 0x260
	v_cndmask_b32_e32 v12, v14, v12, vcc_lo
	v_mul_f32_e32 v14, v11, v12
	s_or_b32 exec_lo, exec_lo, s44
	v_cmp_class_f32_e64 s44, v14, 0x1f8
	s_and_saveexec_b32 s3, s44
	s_cbranch_execz .LBB41_9
.LBB41_42:                              ;   in Loop: Header=BB41_10 Depth=2
	s_mov_b32 s44, 0
                                        ; implicit-def: $vgpr11_vgpr12
	s_and_saveexec_b32 s45, s2
	s_xor_b32 s2, exec_lo, s45
	s_cbranch_execnz .LBB41_56
; %bb.43:                               ;   in Loop: Header=BB41_10 Depth=2
	s_andn2_saveexec_b32 s1, s2
	s_cbranch_execnz .LBB41_69
.LBB41_44:                              ;   in Loop: Header=BB41_10 Depth=2
	s_or_b32 exec_lo, exec_lo, s1
	s_and_b32 exec_lo, exec_lo, s44
	s_cbranch_execz .LBB41_9
	s_branch .LBB41_78
.LBB41_45:                              ;   in Loop: Header=BB41_10 Depth=2
	s_inst_prefetch 0x2
	s_or_b32 exec_lo, exec_lo, s46
	s_and_saveexec_b32 s46, s45
	s_xor_b32 s45, exec_lo, s46
	s_cbranch_execz .LBB41_47
; %bb.46:                               ;   in Loop: Header=BB41_10 Depth=2
	v_lshlrev_b64 v[13:14], 3, v[13:14]
	v_lshlrev_b64 v[29:30], 3, v[7:8]
	v_add_co_u32 v13, vcc_lo, s22, v13
	v_add_co_ci_u32_e64 v14, null, s23, v14, vcc_lo
	v_add_co_u32 v29, vcc_lo, s6, v29
	v_add_co_ci_u32_e64 v30, null, s7, v30, vcc_lo
	global_load_dwordx2 v[13:14], v[13:14], off
	global_load_dwordx2 v[29:30], v[29:30], off
	s_waitcnt vmcnt(0)
	v_mul_f32_e64 v31, v30, -v14
	v_mul_f32_e32 v30, v30, v13
	v_fmac_f32_e32 v31, v13, v29
	v_fmac_f32_e32 v30, v14, v29
	v_add_f32_e32 v27, v27, v31
	v_add_f32_e32 v28, v28, v30
.LBB41_47:                              ;   in Loop: Header=BB41_10 Depth=2
	s_or_b32 exec_lo, exec_lo, s45
.LBB41_48:                              ;   in Loop: Header=BB41_10 Depth=2
	s_or_b32 exec_lo, exec_lo, s44
	s_andn2_saveexec_b32 s3, s3
	s_cbranch_execz .LBB41_22
.LBB41_49:                              ;   in Loop: Header=BB41_10 Depth=2
	v_mov_b32_e32 v29, v10
	s_mov_b32 s45, 0
                                        ; implicit-def: $sgpr44
                                        ; implicit-def: $sgpr47
                                        ; implicit-def: $sgpr46
	s_inst_prefetch 0x1
	s_branch .LBB41_51
	.p2align	6
.LBB41_50:                              ;   in Loop: Header=BB41_51 Depth=3
	s_or_b32 exec_lo, exec_lo, s48
	s_and_b32 s48, exec_lo, s47
	s_or_b32 s45, s48, s45
	s_andn2_b32 s44, s44, exec_lo
	s_and_b32 s48, s46, exec_lo
	s_or_b32 s44, s44, s48
	s_andn2_b32 exec_lo, exec_lo, s45
	s_cbranch_execz .LBB41_53
.LBB41_51:                              ;   Parent Loop BB41_6 Depth=1
                                        ;     Parent Loop BB41_10 Depth=2
                                        ; =>    This Inner Loop Header: Depth=3
	v_add_nc_u32_e32 v13, v9, v29
	s_or_b32 s46, s46, exec_lo
	s_or_b32 s47, s47, exec_lo
	s_mov_b32 s48, exec_lo
	v_ashrrev_i32_e32 v14, 31, v13
	v_lshlrev_b64 v[30:31], 2, v[13:14]
	v_add_co_u32 v30, vcc_lo, s12, v30
	v_add_co_ci_u32_e64 v31, null, s13, v31, vcc_lo
	global_load_dword v30, v[30:31], off
	s_waitcnt vmcnt(0)
	v_subrev_nc_u32_e32 v30, s39, v30
	v_cmpx_ne_u32_e64 v30, v1
	s_cbranch_execz .LBB41_50
; %bb.52:                               ;   in Loop: Header=BB41_51 Depth=3
	v_add_nc_u32_e32 v29, 1, v29
	s_andn2_b32 s47, s47, exec_lo
	s_andn2_b32 s46, s46, exec_lo
	v_cmp_ge_i32_e32 vcc_lo, v29, v25
	s_and_b32 s49, vcc_lo, exec_lo
	s_or_b32 s47, s47, s49
	s_branch .LBB41_50
.LBB41_53:                              ;   in Loop: Header=BB41_10 Depth=2
	s_inst_prefetch 0x2
	s_or_b32 exec_lo, exec_lo, s45
	s_and_saveexec_b32 s45, s44
	s_xor_b32 s44, exec_lo, s45
	s_cbranch_execz .LBB41_55
; %bb.54:                               ;   in Loop: Header=BB41_10 Depth=2
	v_lshlrev_b64 v[13:14], 3, v[13:14]
	v_add_co_u32 v13, vcc_lo, s14, v13
	v_add_co_ci_u32_e64 v14, null, s15, v14, vcc_lo
	global_load_dwordx2 v[13:14], v[13:14], off
	s_waitcnt vmcnt(0)
	v_add_f32_e32 v27, v27, v13
	v_add_f32_e32 v28, v28, v14
.LBB41_55:                              ;   in Loop: Header=BB41_10 Depth=2
	s_or_b32 exec_lo, exec_lo, s44
	s_or_b32 exec_lo, exec_lo, s3
	s_mov_b32 s3, exec_lo
	v_cmpx_eq_u32_e64 v1, v7
	s_cbranch_execnz .LBB41_23
	s_branch .LBB41_24
.LBB41_56:                              ;   in Loop: Header=BB41_10 Depth=2
	s_mov_b32 s45, exec_lo
                                        ; implicit-def: $vgpr11_vgpr12
	v_cmpx_ge_i32_e64 v1, v7
	s_xor_b32 s45, exec_lo, s45
	s_cbranch_execz .LBB41_58
; %bb.57:                               ;   in Loop: Header=BB41_10 Depth=2
	v_lshlrev_b64 v[7:8], 3, v[7:8]
	s_mov_b32 s44, exec_lo
                                        ; implicit-def: $vgpr10
                                        ; implicit-def: $vgpr9
                                        ; implicit-def: $vgpr25
	v_add_co_u32 v11, vcc_lo, s6, v7
	v_add_co_ci_u32_e64 v12, null, s7, v8, vcc_lo
	global_store_dword v[11:12], v26, off
                                        ; implicit-def: $vgpr26
.LBB41_58:                              ;   in Loop: Header=BB41_10 Depth=2
	s_andn2_saveexec_b32 s45, s45
	s_cbranch_execz .LBB41_68
; %bb.59:                               ;   in Loop: Header=BB41_10 Depth=2
	s_mov_b32 s47, s44
                                        ; implicit-def: $vgpr11_vgpr12
	s_and_saveexec_b32 s46, s1
	s_cbranch_execz .LBB41_67
; %bb.60:                               ;   in Loop: Header=BB41_10 Depth=2
	s_mov_b32 s47, 0
                                        ; implicit-def: $sgpr1
                                        ; implicit-def: $sgpr49
                                        ; implicit-def: $sgpr48
	s_inst_prefetch 0x1
	s_branch .LBB41_62
	.p2align	6
.LBB41_61:                              ;   in Loop: Header=BB41_62 Depth=3
	s_or_b32 exec_lo, exec_lo, s50
	s_and_b32 s50, exec_lo, s49
	s_or_b32 s47, s50, s47
	s_andn2_b32 s1, s1, exec_lo
	s_and_b32 s50, s48, exec_lo
	s_or_b32 s1, s1, s50
	s_andn2_b32 exec_lo, exec_lo, s47
	s_cbranch_execz .LBB41_64
.LBB41_62:                              ;   Parent Loop BB41_6 Depth=1
                                        ;     Parent Loop BB41_10 Depth=2
                                        ; =>    This Inner Loop Header: Depth=3
	v_add_nc_u32_e32 v7, v9, v10
	s_or_b32 s48, s48, exec_lo
	s_or_b32 s49, s49, exec_lo
	s_mov_b32 s50, exec_lo
	v_ashrrev_i32_e32 v8, 31, v7
	v_lshlrev_b64 v[11:12], 2, v[7:8]
	v_add_co_u32 v11, vcc_lo, s12, v11
	v_add_co_ci_u32_e64 v12, null, s13, v12, vcc_lo
	global_load_dword v2, v[11:12], off
	s_waitcnt vmcnt(0)
	v_subrev_nc_u32_e32 v2, s39, v2
	v_cmpx_ne_u32_e64 v2, v1
	s_cbranch_execz .LBB41_61
; %bb.63:                               ;   in Loop: Header=BB41_62 Depth=3
	v_add_nc_u32_e32 v10, 1, v10
	s_andn2_b32 s49, s49, exec_lo
	s_andn2_b32 s48, s48, exec_lo
	v_cmp_ge_i32_e32 vcc_lo, v10, v25
	s_and_b32 s51, vcc_lo, exec_lo
	s_or_b32 s49, s49, s51
	s_branch .LBB41_61
.LBB41_64:                              ;   in Loop: Header=BB41_10 Depth=2
	s_inst_prefetch 0x2
	s_or_b32 exec_lo, exec_lo, s47
	s_mov_b32 s47, s44
                                        ; implicit-def: $vgpr11_vgpr12
	s_and_saveexec_b32 s48, s1
	s_xor_b32 s1, exec_lo, s48
	s_cbranch_execz .LBB41_66
; %bb.65:                               ;   in Loop: Header=BB41_10 Depth=2
	v_lshlrev_b64 v[7:8], 3, v[7:8]
	s_or_b32 s47, s44, exec_lo
	v_add_co_u32 v11, vcc_lo, s14, v7
	v_add_co_ci_u32_e64 v12, null, s15, v8, vcc_lo
	global_store_dword v[11:12], v26, off
.LBB41_66:                              ;   in Loop: Header=BB41_10 Depth=2
	s_or_b32 exec_lo, exec_lo, s1
	s_andn2_b32 s1, s44, exec_lo
	s_and_b32 s47, s47, exec_lo
	s_or_b32 s47, s1, s47
.LBB41_67:                              ;   in Loop: Header=BB41_10 Depth=2
	s_or_b32 exec_lo, exec_lo, s46
	s_andn2_b32 s1, s44, exec_lo
	s_and_b32 s44, s47, exec_lo
	s_or_b32 s44, s1, s44
.LBB41_68:                              ;   in Loop: Header=BB41_10 Depth=2
	s_or_b32 exec_lo, exec_lo, s45
	s_and_b32 s44, s44, exec_lo
                                        ; implicit-def: $vgpr26
                                        ; implicit-def: $vgpr7_vgpr8
	s_andn2_saveexec_b32 s1, s2
	s_cbranch_execz .LBB41_44
.LBB41_69:                              ;   in Loop: Header=BB41_10 Depth=2
	s_mov_b32 s45, s44
	s_mov_b32 s2, exec_lo
                                        ; implicit-def: $vgpr11_vgpr12
	v_cmpx_lt_i32_e64 v2, v20
	s_cbranch_execz .LBB41_77
; %bb.70:                               ;   in Loop: Header=BB41_10 Depth=2
	s_mov_b32 s46, 0
                                        ; implicit-def: $sgpr45
                                        ; implicit-def: $sgpr48
                                        ; implicit-def: $sgpr47
	s_inst_prefetch 0x1
	s_branch .LBB41_72
	.p2align	6
.LBB41_71:                              ;   in Loop: Header=BB41_72 Depth=3
	s_or_b32 exec_lo, exec_lo, s49
	s_and_b32 s49, exec_lo, s48
	s_or_b32 s46, s49, s46
	s_andn2_b32 s45, s45, exec_lo
	s_and_b32 s49, s47, exec_lo
	s_or_b32 s45, s45, s49
	s_andn2_b32 exec_lo, exec_lo, s46
	s_cbranch_execz .LBB41_74
.LBB41_72:                              ;   Parent Loop BB41_6 Depth=1
                                        ;     Parent Loop BB41_10 Depth=2
                                        ; =>    This Inner Loop Header: Depth=3
	v_add_nc_u32_e32 v8, v6, v2
	s_or_b32 s47, s47, exec_lo
	s_or_b32 s48, s48, exec_lo
	s_mov_b32 s49, exec_lo
	v_ashrrev_i32_e32 v9, 31, v8
	v_lshlrev_b64 v[10:11], 2, v[8:9]
	v_add_co_u32 v10, vcc_lo, s20, v10
	v_add_co_ci_u32_e64 v11, null, s21, v11, vcc_lo
	global_load_dword v10, v[10:11], off
	s_waitcnt vmcnt(0)
	v_subrev_nc_u32_e32 v10, s38, v10
	v_cmpx_ne_u32_e64 v10, v7
	s_cbranch_execz .LBB41_71
; %bb.73:                               ;   in Loop: Header=BB41_72 Depth=3
	v_add_nc_u32_e32 v2, 1, v2
	s_andn2_b32 s48, s48, exec_lo
	s_andn2_b32 s47, s47, exec_lo
	v_cmp_ge_i32_e32 vcc_lo, v2, v20
	s_and_b32 s50, vcc_lo, exec_lo
	s_or_b32 s48, s48, s50
	s_branch .LBB41_71
.LBB41_74:                              ;   in Loop: Header=BB41_10 Depth=2
	s_inst_prefetch 0x2
	s_or_b32 exec_lo, exec_lo, s46
	s_mov_b32 s46, s44
                                        ; implicit-def: $vgpr11_vgpr12
	s_and_saveexec_b32 s47, s45
	s_xor_b32 s45, exec_lo, s47
	s_cbranch_execz .LBB41_76
; %bb.75:                               ;   in Loop: Header=BB41_10 Depth=2
	v_lshlrev_b64 v[7:8], 3, v[8:9]
	s_or_b32 s46, s44, exec_lo
	v_add_co_u32 v11, vcc_lo, s22, v7
	v_add_co_ci_u32_e64 v12, null, s23, v8, vcc_lo
	global_store_dword v[11:12], v26, off
.LBB41_76:                              ;   in Loop: Header=BB41_10 Depth=2
	s_or_b32 exec_lo, exec_lo, s45
	s_andn2_b32 s45, s44, exec_lo
	s_and_b32 s46, s46, exec_lo
	s_or_b32 s45, s45, s46
.LBB41_77:                              ;   in Loop: Header=BB41_10 Depth=2
	s_or_b32 exec_lo, exec_lo, s2
	s_andn2_b32 s2, s44, exec_lo
	s_and_b32 s44, s45, exec_lo
	s_or_b32 s44, s2, s44
	s_or_b32 exec_lo, exec_lo, s1
	s_and_b32 exec_lo, exec_lo, s44
	s_cbranch_execz .LBB41_9
.LBB41_78:                              ;   in Loop: Header=BB41_10 Depth=2
	global_store_dword v[11:12], v5, off offset:4
	s_branch .LBB41_9
.LBB41_79:
	s_or_b32 exec_lo, exec_lo, s40
.LBB41_80:
	s_or_b32 exec_lo, exec_lo, s35
.LBB41_81:
	s_or_b32 exec_lo, exec_lo, s33
	v_mbcnt_lo_u32_b32 v1, -1, 0
	s_mov_b32 s0, exec_lo
	v_or_b32_e32 v2, 32, v1
	v_xor_b32_e32 v3, 16, v1
	v_xor_b32_e32 v4, 8, v1
	v_cmp_gt_i32_e32 vcc_lo, 32, v2
	v_cndmask_b32_e32 v2, v1, v2, vcc_lo
	v_cmp_gt_i32_e32 vcc_lo, 32, v3
	v_lshlrev_b32_e32 v2, 2, v2
	v_cndmask_b32_e32 v3, v1, v3, vcc_lo
	ds_bpermute_b32 v2, v2, v17
	v_lshlrev_b32_e32 v3, 2, v3
	s_waitcnt lgkmcnt(0)
	v_cmp_lt_f32_e32 vcc_lo, v17, v2
	v_cndmask_b32_e32 v2, v17, v2, vcc_lo
	v_cmp_gt_i32_e32 vcc_lo, 32, v4
	ds_bpermute_b32 v3, v3, v2
	v_cndmask_b32_e32 v4, v1, v4, vcc_lo
	v_lshlrev_b32_e32 v4, 2, v4
	s_waitcnt lgkmcnt(0)
	v_cmp_lt_f32_e32 vcc_lo, v2, v3
	v_cndmask_b32_e32 v2, v2, v3, vcc_lo
	ds_bpermute_b32 v3, v4, v2
	v_xor_b32_e32 v4, 4, v1
	v_cmp_gt_i32_e32 vcc_lo, 32, v4
	v_cndmask_b32_e32 v4, v1, v4, vcc_lo
	v_lshlrev_b32_e32 v4, 2, v4
	s_waitcnt lgkmcnt(0)
	v_cmp_lt_f32_e32 vcc_lo, v2, v3
	v_cndmask_b32_e32 v2, v2, v3, vcc_lo
	ds_bpermute_b32 v3, v4, v2
	v_xor_b32_e32 v4, 2, v1
	v_cmp_gt_i32_e32 vcc_lo, 32, v4
	;; [unrolled: 8-line block ×3, first 2 shown]
	v_cndmask_b32_e32 v4, v1, v4, vcc_lo
	s_waitcnt lgkmcnt(0)
	v_cmp_lt_f32_e32 vcc_lo, v2, v3
	v_cndmask_b32_e32 v1, v2, v3, vcc_lo
	v_lshlrev_b32_e32 v2, 2, v4
	ds_bpermute_b32 v2, v2, v1
	v_cmpx_eq_u32_e32 63, v16
	s_cbranch_execz .LBB41_83
; %bb.82:
	s_waitcnt lgkmcnt(0)
	v_cmp_lt_f32_e32 vcc_lo, v1, v2
	v_lshlrev_b32_e32 v3, 2, v15
	v_cndmask_b32_e32 v1, v1, v2, vcc_lo
	ds_write_b32 v3, v1
.LBB41_83:
	s_or_b32 exec_lo, exec_lo, s0
	v_lshlrev_b32_e32 v1, 2, v0
	s_mov_b32 s0, exec_lo
	s_waitcnt lgkmcnt(0)
	s_waitcnt_vscnt null, 0x0
	s_barrier
	buffer_gl0_inv
	v_cmpx_gt_u32_e32 8, v0
	s_cbranch_execz .LBB41_85
; %bb.84:
	ds_read2_b32 v[2:3], v1 offset1:8
	s_waitcnt lgkmcnt(0)
	v_cmp_lt_f32_e32 vcc_lo, v2, v3
	v_cndmask_b32_e32 v2, v2, v3, vcc_lo
	ds_write_b32 v1, v2
.LBB41_85:
	s_or_b32 exec_lo, exec_lo, s0
	s_mov_b32 s0, exec_lo
	s_waitcnt lgkmcnt(0)
	s_barrier
	buffer_gl0_inv
	v_cmpx_gt_u32_e32 4, v0
	s_cbranch_execz .LBB41_87
; %bb.86:
	ds_read2_b32 v[2:3], v1 offset1:4
	s_waitcnt lgkmcnt(0)
	v_cmp_lt_f32_e32 vcc_lo, v2, v3
	v_cndmask_b32_e32 v2, v2, v3, vcc_lo
	ds_write_b32 v1, v2
.LBB41_87:
	s_or_b32 exec_lo, exec_lo, s0
	s_mov_b32 s0, exec_lo
	s_waitcnt lgkmcnt(0)
	s_barrier
	buffer_gl0_inv
	v_cmpx_gt_u32_e32 2, v0
	s_cbranch_execz .LBB41_89
; %bb.88:
	ds_read2_b32 v[2:3], v1 offset1:2
	s_waitcnt lgkmcnt(0)
	v_cmp_lt_f32_e32 vcc_lo, v2, v3
	v_cndmask_b32_e32 v2, v2, v3, vcc_lo
	ds_write_b32 v1, v2
.LBB41_89:
	s_or_b32 exec_lo, exec_lo, s0
	v_cmp_eq_u32_e32 vcc_lo, 0, v0
	s_waitcnt lgkmcnt(0)
	s_barrier
	buffer_gl0_inv
	s_and_saveexec_b32 s1, vcc_lo
	s_cbranch_execz .LBB41_91
; %bb.90:
	v_mov_b32_e32 v2, 0
	ds_read_b64 v[0:1], v2
	s_waitcnt lgkmcnt(0)
	v_cmp_lt_f32_e64 s0, v0, v1
	v_cndmask_b32_e64 v0, v0, v1, s0
	ds_write_b32 v2, v0
.LBB41_91:
	s_or_b32 exec_lo, exec_lo, s1
	s_waitcnt lgkmcnt(0)
	s_barrier
	buffer_gl0_inv
	s_and_saveexec_b32 s0, vcc_lo
	s_cbranch_execz .LBB41_95
; %bb.92:
	v_mbcnt_lo_u32_b32 v0, exec_lo, 0
	s_mov_b32 s6, 0
	v_cmp_eq_u32_e32 vcc_lo, 0, v0
	s_and_b32 exec_lo, exec_lo, vcc_lo
	s_cbranch_execz .LBB41_95
; %bb.93:
	s_load_dwordx4 s[0:3], s[4:5], 0x88
	v_mov_b32_e32 v2, 0
	s_waitcnt lgkmcnt(0)
	s_clause 0x1
	global_load_dword v0, v2, s[2:3]
	global_load_dword v1, v2, s[0:1]
	ds_read_b32 v3, v2
	s_waitcnt vmcnt(1) lgkmcnt(0)
	v_div_scale_f32 v4, null, v0, v0, v3
	v_rcp_f32_e32 v5, v4
	v_fma_f32 v6, -v4, v5, 1.0
	v_fmac_f32_e32 v5, v6, v5
	v_div_scale_f32 v6, vcc_lo, v3, v0, v3
	v_mul_f32_e32 v7, v6, v5
	v_fma_f32 v8, -v4, v7, v6
	v_fmac_f32_e32 v7, v8, v5
	v_fma_f32 v4, -v4, v7, v6
	v_div_fmas_f32 v4, v4, v5, v7
	v_div_fixup_f32 v0, v4, v0, v3
	v_max_f32_e32 v3, v0, v0
.LBB41_94:                              ; =>This Inner Loop Header: Depth=1
	s_waitcnt vmcnt(0)
	v_max_f32_e32 v0, v1, v1
	v_max_f32_e32 v0, v0, v3
	global_atomic_cmpswap v0, v2, v[0:1], s[0:1] glc
	s_waitcnt vmcnt(0)
	v_cmp_eq_u32_e32 vcc_lo, v0, v1
	v_mov_b32_e32 v1, v0
	s_or_b32 s6, vcc_lo, s6
	s_andn2_b32 exec_lo, exec_lo, s6
	s_cbranch_execnz .LBB41_94
.LBB41_95:
	s_endpgm
	.section	.rodata,"a",@progbits
	.p2align	6, 0x0
	.amdhsa_kernel _ZN9rocsparseL17kernel_correctionILi1024ELi64E21rocsparse_complex_numIfEiiEEvT3_T2_PKS4_S6_PKS3_PKT1_21rocsparse_index_base_S6_S6_S8_PS9_SC_S6_S6_S8_SD_SC_SD_PNS_15floating_traitsIS9_E6data_tEPKSG_
		.amdhsa_group_segment_fixed_size 64
		.amdhsa_private_segment_fixed_size 0
		.amdhsa_kernarg_size 152
		.amdhsa_user_sgpr_count 6
		.amdhsa_user_sgpr_private_segment_buffer 1
		.amdhsa_user_sgpr_dispatch_ptr 0
		.amdhsa_user_sgpr_queue_ptr 0
		.amdhsa_user_sgpr_kernarg_segment_ptr 1
		.amdhsa_user_sgpr_dispatch_id 0
		.amdhsa_user_sgpr_flat_scratch_init 0
		.amdhsa_user_sgpr_private_segment_size 0
		.amdhsa_wavefront_size32 1
		.amdhsa_uses_dynamic_stack 0
		.amdhsa_system_sgpr_private_segment_wavefront_offset 0
		.amdhsa_system_sgpr_workgroup_id_x 1
		.amdhsa_system_sgpr_workgroup_id_y 0
		.amdhsa_system_sgpr_workgroup_id_z 0
		.amdhsa_system_sgpr_workgroup_info 0
		.amdhsa_system_vgpr_workitem_id 0
		.amdhsa_next_free_vgpr 35
		.amdhsa_next_free_sgpr 52
		.amdhsa_reserve_vcc 1
		.amdhsa_reserve_flat_scratch 0
		.amdhsa_float_round_mode_32 0
		.amdhsa_float_round_mode_16_64 0
		.amdhsa_float_denorm_mode_32 3
		.amdhsa_float_denorm_mode_16_64 3
		.amdhsa_dx10_clamp 1
		.amdhsa_ieee_mode 1
		.amdhsa_fp16_overflow 0
		.amdhsa_workgroup_processor_mode 1
		.amdhsa_memory_ordered 1
		.amdhsa_forward_progress 1
		.amdhsa_shared_vgpr_count 0
		.amdhsa_exception_fp_ieee_invalid_op 0
		.amdhsa_exception_fp_denorm_src 0
		.amdhsa_exception_fp_ieee_div_zero 0
		.amdhsa_exception_fp_ieee_overflow 0
		.amdhsa_exception_fp_ieee_underflow 0
		.amdhsa_exception_fp_ieee_inexact 0
		.amdhsa_exception_int_div_zero 0
	.end_amdhsa_kernel
	.section	.text._ZN9rocsparseL17kernel_correctionILi1024ELi64E21rocsparse_complex_numIfEiiEEvT3_T2_PKS4_S6_PKS3_PKT1_21rocsparse_index_base_S6_S6_S8_PS9_SC_S6_S6_S8_SD_SC_SD_PNS_15floating_traitsIS9_E6data_tEPKSG_,"axG",@progbits,_ZN9rocsparseL17kernel_correctionILi1024ELi64E21rocsparse_complex_numIfEiiEEvT3_T2_PKS4_S6_PKS3_PKT1_21rocsparse_index_base_S6_S6_S8_PS9_SC_S6_S6_S8_SD_SC_SD_PNS_15floating_traitsIS9_E6data_tEPKSG_,comdat
.Lfunc_end41:
	.size	_ZN9rocsparseL17kernel_correctionILi1024ELi64E21rocsparse_complex_numIfEiiEEvT3_T2_PKS4_S6_PKS3_PKT1_21rocsparse_index_base_S6_S6_S8_PS9_SC_S6_S6_S8_SD_SC_SD_PNS_15floating_traitsIS9_E6data_tEPKSG_, .Lfunc_end41-_ZN9rocsparseL17kernel_correctionILi1024ELi64E21rocsparse_complex_numIfEiiEEvT3_T2_PKS4_S6_PKS3_PKT1_21rocsparse_index_base_S6_S6_S8_PS9_SC_S6_S6_S8_SD_SC_SD_PNS_15floating_traitsIS9_E6data_tEPKSG_
                                        ; -- End function
	.set _ZN9rocsparseL17kernel_correctionILi1024ELi64E21rocsparse_complex_numIfEiiEEvT3_T2_PKS4_S6_PKS3_PKT1_21rocsparse_index_base_S6_S6_S8_PS9_SC_S6_S6_S8_SD_SC_SD_PNS_15floating_traitsIS9_E6data_tEPKSG_.num_vgpr, 35
	.set _ZN9rocsparseL17kernel_correctionILi1024ELi64E21rocsparse_complex_numIfEiiEEvT3_T2_PKS4_S6_PKS3_PKT1_21rocsparse_index_base_S6_S6_S8_PS9_SC_S6_S6_S8_SD_SC_SD_PNS_15floating_traitsIS9_E6data_tEPKSG_.num_agpr, 0
	.set _ZN9rocsparseL17kernel_correctionILi1024ELi64E21rocsparse_complex_numIfEiiEEvT3_T2_PKS4_S6_PKS3_PKT1_21rocsparse_index_base_S6_S6_S8_PS9_SC_S6_S6_S8_SD_SC_SD_PNS_15floating_traitsIS9_E6data_tEPKSG_.numbered_sgpr, 52
	.set _ZN9rocsparseL17kernel_correctionILi1024ELi64E21rocsparse_complex_numIfEiiEEvT3_T2_PKS4_S6_PKS3_PKT1_21rocsparse_index_base_S6_S6_S8_PS9_SC_S6_S6_S8_SD_SC_SD_PNS_15floating_traitsIS9_E6data_tEPKSG_.num_named_barrier, 0
	.set _ZN9rocsparseL17kernel_correctionILi1024ELi64E21rocsparse_complex_numIfEiiEEvT3_T2_PKS4_S6_PKS3_PKT1_21rocsparse_index_base_S6_S6_S8_PS9_SC_S6_S6_S8_SD_SC_SD_PNS_15floating_traitsIS9_E6data_tEPKSG_.private_seg_size, 0
	.set _ZN9rocsparseL17kernel_correctionILi1024ELi64E21rocsparse_complex_numIfEiiEEvT3_T2_PKS4_S6_PKS3_PKT1_21rocsparse_index_base_S6_S6_S8_PS9_SC_S6_S6_S8_SD_SC_SD_PNS_15floating_traitsIS9_E6data_tEPKSG_.uses_vcc, 1
	.set _ZN9rocsparseL17kernel_correctionILi1024ELi64E21rocsparse_complex_numIfEiiEEvT3_T2_PKS4_S6_PKS3_PKT1_21rocsparse_index_base_S6_S6_S8_PS9_SC_S6_S6_S8_SD_SC_SD_PNS_15floating_traitsIS9_E6data_tEPKSG_.uses_flat_scratch, 0
	.set _ZN9rocsparseL17kernel_correctionILi1024ELi64E21rocsparse_complex_numIfEiiEEvT3_T2_PKS4_S6_PKS3_PKT1_21rocsparse_index_base_S6_S6_S8_PS9_SC_S6_S6_S8_SD_SC_SD_PNS_15floating_traitsIS9_E6data_tEPKSG_.has_dyn_sized_stack, 0
	.set _ZN9rocsparseL17kernel_correctionILi1024ELi64E21rocsparse_complex_numIfEiiEEvT3_T2_PKS4_S6_PKS3_PKT1_21rocsparse_index_base_S6_S6_S8_PS9_SC_S6_S6_S8_SD_SC_SD_PNS_15floating_traitsIS9_E6data_tEPKSG_.has_recursion, 0
	.set _ZN9rocsparseL17kernel_correctionILi1024ELi64E21rocsparse_complex_numIfEiiEEvT3_T2_PKS4_S6_PKS3_PKT1_21rocsparse_index_base_S6_S6_S8_PS9_SC_S6_S6_S8_SD_SC_SD_PNS_15floating_traitsIS9_E6data_tEPKSG_.has_indirect_call, 0
	.section	.AMDGPU.csdata,"",@progbits
; Kernel info:
; codeLenInByte = 4320
; TotalNumSgprs: 54
; NumVgprs: 35
; ScratchSize: 0
; MemoryBound: 0
; FloatMode: 240
; IeeeMode: 1
; LDSByteSize: 64 bytes/workgroup (compile time only)
; SGPRBlocks: 0
; VGPRBlocks: 4
; NumSGPRsForWavesPerEU: 54
; NumVGPRsForWavesPerEU: 35
; Occupancy: 16
; WaveLimiterHint : 1
; COMPUTE_PGM_RSRC2:SCRATCH_EN: 0
; COMPUTE_PGM_RSRC2:USER_SGPR: 6
; COMPUTE_PGM_RSRC2:TRAP_HANDLER: 0
; COMPUTE_PGM_RSRC2:TGID_X_EN: 1
; COMPUTE_PGM_RSRC2:TGID_Y_EN: 0
; COMPUTE_PGM_RSRC2:TGID_Z_EN: 0
; COMPUTE_PGM_RSRC2:TIDIG_COMP_CNT: 0
	.section	.text._ZN9rocsparseL25kernel_correction_no_normILi1024ELi1E21rocsparse_complex_numIdEiiEEvT3_T2_PKS4_S6_PKS3_PKT1_21rocsparse_index_base_S6_S6_S8_PS9_SC_S6_S6_S8_SD_SC_SD_,"axG",@progbits,_ZN9rocsparseL25kernel_correction_no_normILi1024ELi1E21rocsparse_complex_numIdEiiEEvT3_T2_PKS4_S6_PKS3_PKT1_21rocsparse_index_base_S6_S6_S8_PS9_SC_S6_S6_S8_SD_SC_SD_,comdat
	.globl	_ZN9rocsparseL25kernel_correction_no_normILi1024ELi1E21rocsparse_complex_numIdEiiEEvT3_T2_PKS4_S6_PKS3_PKT1_21rocsparse_index_base_S6_S6_S8_PS9_SC_S6_S6_S8_SD_SC_SD_ ; -- Begin function _ZN9rocsparseL25kernel_correction_no_normILi1024ELi1E21rocsparse_complex_numIdEiiEEvT3_T2_PKS4_S6_PKS3_PKT1_21rocsparse_index_base_S6_S6_S8_PS9_SC_S6_S6_S8_SD_SC_SD_
	.p2align	8
	.type	_ZN9rocsparseL25kernel_correction_no_normILi1024ELi1E21rocsparse_complex_numIdEiiEEvT3_T2_PKS4_S6_PKS3_PKT1_21rocsparse_index_base_S6_S6_S8_PS9_SC_S6_S6_S8_SD_SC_SD_,@function
_ZN9rocsparseL25kernel_correction_no_normILi1024ELi1E21rocsparse_complex_numIdEiiEEvT3_T2_PKS4_S6_PKS3_PKT1_21rocsparse_index_base_S6_S6_S8_PS9_SC_S6_S6_S8_SD_SC_SD_: ; @_ZN9rocsparseL25kernel_correction_no_normILi1024ELi1E21rocsparse_complex_numIdEiiEEvT3_T2_PKS4_S6_PKS3_PKT1_21rocsparse_index_base_S6_S6_S8_PS9_SC_S6_S6_S8_SD_SC_SD_
; %bb.0:
	s_load_dword s7, s[4:5], 0x0
	s_lshl_b32 s6, s6, 10
	s_mov_b32 s0, exec_lo
	v_or_b32_e32 v0, s6, v0
	s_waitcnt lgkmcnt(0)
	v_cmpx_gt_i32_e64 s7, v0
	s_cbranch_execz .LBB42_51
; %bb.1:
	s_addk_i32 s6, 0x400
	v_cmp_gt_u32_e32 vcc_lo, s6, v0
	s_and_b32 exec_lo, exec_lo, vcc_lo
	s_cbranch_execz .LBB42_51
; %bb.2:
	s_clause 0x6
	s_load_dwordx8 s[8:15], s[4:5], 0x58
	s_load_dwordx8 s[16:23], s[4:5], 0x30
	;; [unrolled: 1-line block ×3, first 2 shown]
	s_load_dword s33, s[4:5], 0x28
	s_load_dword s34, s[4:5], 0x50
	s_load_dwordx2 s[2:3], s[4:5], 0x80
	s_load_dword s4, s[4:5], 0x78
	v_mov_b32_e32 v2, 0
	s_mov_b32 s5, 0
	s_branch .LBB42_4
.LBB42_3:                               ;   in Loop: Header=BB42_4 Depth=1
	s_or_b32 exec_lo, exec_lo, s35
	v_add_nc_u32_e32 v0, 0x400, v0
	v_cmp_le_u32_e32 vcc_lo, s6, v0
	s_or_b32 s5, vcc_lo, s5
	s_andn2_b32 exec_lo, exec_lo, s5
	s_cbranch_execz .LBB42_51
.LBB42_4:                               ; =>This Loop Header: Depth=1
                                        ;     Child Loop BB42_8 Depth 2
                                        ;       Child Loop BB42_12 Depth 3
                                        ;       Child Loop BB42_34 Depth 3
	;; [unrolled: 1-line block ×3, first 2 shown]
	s_mov_b32 s35, exec_lo
	v_cmpx_gt_i32_e64 s7, v0
	s_cbranch_execz .LBB42_3
; %bb.5:                                ;   in Loop: Header=BB42_4 Depth=1
	v_ashrrev_i32_e32 v1, 31, v0
	v_lshlrev_b64 v[3:4], 2, v[0:1]
	s_waitcnt lgkmcnt(0)
	v_add_co_u32 v5, vcc_lo, s24, v3
	v_add_co_ci_u32_e64 v6, null, s25, v4, vcc_lo
	v_add_co_u32 v7, vcc_lo, s26, v3
	v_add_co_ci_u32_e64 v8, null, s27, v4, vcc_lo
	global_load_dword v1, v[5:6], off
	global_load_dword v5, v[7:8], off
	s_waitcnt vmcnt(0)
	v_cmp_lt_i32_e32 vcc_lo, v1, v5
	s_and_b32 exec_lo, exec_lo, vcc_lo
	s_cbranch_execz .LBB42_3
; %bb.6:                                ;   in Loop: Header=BB42_4 Depth=1
	v_add_co_u32 v6, vcc_lo, s16, v3
	v_add_co_ci_u32_e64 v7, null, s17, v4, vcc_lo
	v_add_co_u32 v3, vcc_lo, s18, v3
	v_add_co_ci_u32_e64 v4, null, s19, v4, vcc_lo
	global_load_dword v8, v[6:7], off
	v_subrev_nc_u32_e32 v21, s33, v5
	v_subrev_nc_u32_e32 v5, s33, v1
	global_load_dword v9, v[3:4], off
	s_mov_b32 s36, 0
	s_waitcnt vmcnt(1)
	v_subrev_nc_u32_e32 v3, s34, v8
	s_waitcnt vmcnt(0)
	v_sub_nc_u32_e32 v22, v9, v8
	v_ashrrev_i32_e32 v4, 31, v3
	v_cmp_lt_i32_e64 s0, 0, v22
	v_lshlrev_b64 v[6:7], 2, v[3:4]
	v_lshlrev_b64 v[8:9], 4, v[3:4]
	v_add_co_u32 v4, vcc_lo, s20, v6
	v_add_co_ci_u32_e64 v23, null, s21, v7, vcc_lo
	v_add_co_u32 v24, vcc_lo, s22, v8
	v_add_co_ci_u32_e64 v25, null, s23, v9, vcc_lo
	s_branch .LBB42_8
.LBB42_7:                               ;   in Loop: Header=BB42_8 Depth=2
	s_or_b32 exec_lo, exec_lo, s37
	v_add_nc_u32_e32 v5, 1, v5
	v_cmp_ge_i32_e32 vcc_lo, v5, v21
	s_or_b32 s36, vcc_lo, s36
	s_andn2_b32 exec_lo, exec_lo, s36
	s_cbranch_execz .LBB42_3
.LBB42_8:                               ;   Parent Loop BB42_4 Depth=1
                                        ; =>  This Loop Header: Depth=2
                                        ;       Child Loop BB42_12 Depth 3
                                        ;       Child Loop BB42_34 Depth 3
	;; [unrolled: 1-line block ×3, first 2 shown]
	v_ashrrev_i32_e32 v6, 31, v5
	v_mov_b32_e32 v15, 0
	v_mov_b32_e32 v16, 0
	v_lshlrev_b64 v[7:8], 2, v[5:6]
	v_add_co_u32 v7, vcc_lo, s28, v7
	v_add_co_ci_u32_e64 v8, null, s29, v8, vcc_lo
	global_load_dword v1, v[7:8], off
	s_waitcnt vmcnt(0)
	v_subrev_nc_u32_e32 v7, s33, v1
	v_mov_b32_e32 v1, 0
	v_ashrrev_i32_e32 v8, 31, v7
	v_lshlrev_b64 v[9:10], 2, v[7:8]
	v_add_co_u32 v11, vcc_lo, s8, v9
	v_add_co_ci_u32_e64 v12, null, s9, v10, vcc_lo
	v_add_co_u32 v9, vcc_lo, s10, v9
	v_add_co_ci_u32_e64 v10, null, s11, v10, vcc_lo
	global_load_dword v12, v[11:12], off
	global_load_dword v13, v[9:10], off
	v_mov_b32_e32 v9, 0
	v_mov_b32_e32 v10, 0
	s_waitcnt vmcnt(1)
	v_subrev_nc_u32_e32 v11, s4, v12
	s_waitcnt vmcnt(0)
	v_sub_nc_u32_e32 v26, v13, v12
	v_mov_b32_e32 v12, v1
	s_and_saveexec_b32 s37, s0
	s_cbranch_execz .LBB42_16
; %bb.9:                                ;   in Loop: Header=BB42_8 Depth=2
	v_ashrrev_i32_e32 v12, 31, v11
	v_mov_b32_e32 v9, 0
	v_mov_b32_e32 v10, 0
	;; [unrolled: 1-line block ×3, first 2 shown]
	s_mov_b32 s38, 0
	v_lshlrev_b64 v[14:15], 2, v[11:12]
	v_lshlrev_b64 v[12:13], 4, v[11:12]
                                        ; implicit-def: $sgpr39
	v_add_co_u32 v14, vcc_lo, s12, v14
	v_add_co_ci_u32_e64 v17, null, s13, v15, vcc_lo
	v_add_co_u32 v18, vcc_lo, s14, v12
	v_mov_b32_e32 v15, 0
	v_add_co_ci_u32_e64 v19, null, s15, v13, vcc_lo
	v_mov_b32_e32 v12, 0
	v_mov_b32_e32 v16, 0
	s_branch .LBB42_12
.LBB42_10:                              ;   in Loop: Header=BB42_12 Depth=3
	s_or_b32 exec_lo, exec_lo, s1
	v_cmp_le_i32_e32 vcc_lo, v20, v27
	v_cmp_ge_i32_e64 s1, v20, v27
	v_add_co_ci_u32_e64 v1, null, 0, v1, vcc_lo
	v_add_co_ci_u32_e64 v12, null, 0, v12, s1
	s_andn2_b32 s1, s39, exec_lo
	v_cmp_ge_i32_e32 vcc_lo, v1, v22
	s_and_b32 s39, vcc_lo, exec_lo
	s_or_b32 s39, s1, s39
.LBB42_11:                              ;   in Loop: Header=BB42_12 Depth=3
	s_or_b32 exec_lo, exec_lo, s40
	s_and_b32 s1, exec_lo, s39
	s_or_b32 s38, s1, s38
	s_andn2_b32 exec_lo, exec_lo, s38
	s_cbranch_execz .LBB42_15
.LBB42_12:                              ;   Parent Loop BB42_4 Depth=1
                                        ;     Parent Loop BB42_8 Depth=2
                                        ; =>    This Inner Loop Header: Depth=3
	s_or_b32 s39, s39, exec_lo
	s_mov_b32 s40, exec_lo
	v_cmpx_lt_i32_e64 v12, v26
	s_cbranch_execz .LBB42_11
; %bb.13:                               ;   in Loop: Header=BB42_12 Depth=3
	v_mov_b32_e32 v13, v2
	v_lshlrev_b64 v[27:28], 2, v[1:2]
	s_mov_b32 s1, exec_lo
	v_lshlrev_b64 v[29:30], 2, v[12:13]
	v_add_co_u32 v27, vcc_lo, v4, v27
	v_add_co_ci_u32_e64 v28, null, v23, v28, vcc_lo
	v_add_co_u32 v29, vcc_lo, v14, v29
	v_add_co_ci_u32_e64 v30, null, v17, v30, vcc_lo
	global_load_dword v20, v[27:28], off
	global_load_dword v27, v[29:30], off
	s_waitcnt vmcnt(1)
	v_subrev_nc_u32_e32 v20, s34, v20
	s_waitcnt vmcnt(0)
	v_subrev_nc_u32_e32 v27, s4, v27
	v_cmpx_eq_u32_e64 v20, v27
	s_cbranch_execz .LBB42_10
; %bb.14:                               ;   in Loop: Header=BB42_12 Depth=3
	v_lshlrev_b64 v[28:29], 4, v[1:2]
	v_lshlrev_b64 v[30:31], 4, v[12:13]
	v_add_co_u32 v28, vcc_lo, v24, v28
	v_add_co_ci_u32_e64 v29, null, v25, v29, vcc_lo
	v_add_co_u32 v32, vcc_lo, v18, v30
	v_add_co_ci_u32_e64 v33, null, v19, v31, vcc_lo
	global_load_dwordx4 v[28:31], v[28:29], off
	global_load_dwordx4 v[32:35], v[32:33], off
	s_waitcnt vmcnt(0)
	v_fma_f64 v[9:10], v[28:29], v[32:33], v[9:10]
	v_fma_f64 v[15:16], v[30:31], v[32:33], v[15:16]
	v_fma_f64 v[9:10], -v[30:31], v[34:35], v[9:10]
	v_fma_f64 v[15:16], v[28:29], v[34:35], v[15:16]
	s_branch .LBB42_10
.LBB42_15:                              ;   in Loop: Header=BB42_8 Depth=2
	s_or_b32 exec_lo, exec_lo, s38
.LBB42_16:                              ;   in Loop: Header=BB42_8 Depth=2
	s_or_b32 exec_lo, exec_lo, s37
	v_lshlrev_b64 v[13:14], 4, v[5:6]
	v_cmp_le_i32_e64 s1, v0, v7
	s_mov_b32 s37, exec_lo
	v_add_co_u32 v13, vcc_lo, s30, v13
	v_add_co_ci_u32_e64 v14, null, s31, v14, vcc_lo
	global_load_dwordx4 v[17:20], v[13:14], off
	s_waitcnt vmcnt(0)
	v_add_f64 v[13:14], v[17:18], -v[9:10]
	v_add_f64 v[9:10], v[19:20], -v[15:16]
	v_cmpx_gt_i32_e64 v0, v7
	s_cbranch_execz .LBB42_18
; %bb.17:                               ;   in Loop: Header=BB42_8 Depth=2
	v_lshlrev_b64 v[15:16], 4, v[7:8]
	v_add_co_u32 v15, vcc_lo, s2, v15
	v_add_co_ci_u32_e64 v16, null, s3, v16, vcc_lo
	global_load_dwordx4 v[15:18], v[15:16], off
	s_waitcnt vmcnt(0)
	v_mul_f64 v[19:20], v[17:18], v[17:18]
	v_fma_f64 v[19:20], v[15:16], v[15:16], v[19:20]
	v_div_scale_f64 v[27:28], null, v[19:20], v[19:20], 1.0
	v_div_scale_f64 v[33:34], vcc_lo, 1.0, v[19:20], 1.0
	v_rcp_f64_e32 v[29:30], v[27:28]
	v_fma_f64 v[31:32], -v[27:28], v[29:30], 1.0
	v_fma_f64 v[29:30], v[29:30], v[31:32], v[29:30]
	v_fma_f64 v[31:32], -v[27:28], v[29:30], 1.0
	v_fma_f64 v[29:30], v[29:30], v[31:32], v[29:30]
	v_mul_f64 v[31:32], v[33:34], v[29:30]
	v_fma_f64 v[27:28], -v[27:28], v[31:32], v[33:34]
	v_div_fmas_f64 v[27:28], v[27:28], v[29:30], v[31:32]
	v_mul_f64 v[29:30], v[9:10], v[17:18]
	v_mul_f64 v[17:18], v[17:18], -v[13:14]
	v_div_fixup_f64 v[19:20], v[27:28], v[19:20], 1.0
	v_fma_f64 v[13:14], v[13:14], v[15:16], v[29:30]
	v_fma_f64 v[9:10], v[9:10], v[15:16], v[17:18]
	v_mul_f64 v[13:14], v[13:14], v[19:20]
	v_mul_f64 v[9:10], v[9:10], v[19:20]
.LBB42_18:                              ;   in Loop: Header=BB42_8 Depth=2
	s_or_b32 exec_lo, exec_lo, s37
	v_cmp_gt_f64_e32 vcc_lo, 0, v[13:14]
	v_xor_b32_e32 v6, 0x80000000, v14
	v_xor_b32_e32 v17, 0x80000000, v10
	v_mov_b32_e32 v15, v13
	s_mov_b32 s37, exec_lo
                                        ; implicit-def: $vgpr19_vgpr20
	v_cndmask_b32_e32 v16, v14, v6, vcc_lo
	v_cmp_gt_f64_e32 vcc_lo, 0, v[9:10]
	v_cndmask_b32_e32 v18, v10, v17, vcc_lo
	v_mov_b32_e32 v17, v9
	v_cmpx_ngt_f64_e32 v[15:16], v[17:18]
	s_xor_b32 s37, exec_lo, s37
	s_cbranch_execnz .LBB42_21
; %bb.19:                               ;   in Loop: Header=BB42_8 Depth=2
	s_andn2_saveexec_b32 s37, s37
	s_cbranch_execnz .LBB42_24
.LBB42_20:                              ;   in Loop: Header=BB42_8 Depth=2
	s_or_b32 exec_lo, exec_lo, s37
	v_cmp_class_f64_e64 s38, v[19:20], 0x1f8
	s_and_saveexec_b32 s37, s38
	s_cbranch_execz .LBB42_7
	s_branch .LBB42_25
.LBB42_21:                              ;   in Loop: Header=BB42_8 Depth=2
	v_mov_b32_e32 v19, 0
	v_mov_b32_e32 v20, 0
	s_mov_b32 s38, exec_lo
	v_cmpx_neq_f64_e32 0, v[9:10]
	s_cbranch_execz .LBB42_23
; %bb.22:                               ;   in Loop: Header=BB42_8 Depth=2
	v_div_scale_f64 v[19:20], null, v[17:18], v[17:18], v[15:16]
	v_div_scale_f64 v[31:32], vcc_lo, v[15:16], v[17:18], v[15:16]
	v_rcp_f64_e32 v[27:28], v[19:20]
	v_fma_f64 v[29:30], -v[19:20], v[27:28], 1.0
	v_fma_f64 v[27:28], v[27:28], v[29:30], v[27:28]
	v_fma_f64 v[29:30], -v[19:20], v[27:28], 1.0
	v_fma_f64 v[27:28], v[27:28], v[29:30], v[27:28]
	v_mul_f64 v[29:30], v[31:32], v[27:28]
	v_fma_f64 v[19:20], -v[19:20], v[29:30], v[31:32]
	v_div_fmas_f64 v[19:20], v[19:20], v[27:28], v[29:30]
	v_div_fixup_f64 v[15:16], v[19:20], v[17:18], v[15:16]
	v_fma_f64 v[15:16], v[15:16], v[15:16], 1.0
	v_cmp_gt_f64_e32 vcc_lo, 0x10000000, v[15:16]
	v_cndmask_b32_e64 v6, 0, 0x100, vcc_lo
	v_ldexp_f64 v[15:16], v[15:16], v6
	v_cndmask_b32_e64 v6, 0, 0xffffff80, vcc_lo
	v_rsq_f64_e32 v[19:20], v[15:16]
	v_cmp_class_f64_e64 vcc_lo, v[15:16], 0x260
	v_mul_f64 v[27:28], v[15:16], v[19:20]
	v_mul_f64 v[19:20], v[19:20], 0.5
	v_fma_f64 v[29:30], -v[19:20], v[27:28], 0.5
	v_fma_f64 v[27:28], v[27:28], v[29:30], v[27:28]
	v_fma_f64 v[19:20], v[19:20], v[29:30], v[19:20]
	v_fma_f64 v[29:30], -v[27:28], v[27:28], v[15:16]
	v_fma_f64 v[27:28], v[29:30], v[19:20], v[27:28]
	v_fma_f64 v[29:30], -v[27:28], v[27:28], v[15:16]
	v_fma_f64 v[19:20], v[29:30], v[19:20], v[27:28]
	v_ldexp_f64 v[19:20], v[19:20], v6
	v_cndmask_b32_e32 v16, v20, v16, vcc_lo
	v_cndmask_b32_e32 v15, v19, v15, vcc_lo
	v_mul_f64 v[19:20], v[17:18], v[15:16]
.LBB42_23:                              ;   in Loop: Header=BB42_8 Depth=2
	s_or_b32 exec_lo, exec_lo, s38
                                        ; implicit-def: $vgpr15_vgpr16
                                        ; implicit-def: $vgpr17_vgpr18
	s_andn2_saveexec_b32 s37, s37
	s_cbranch_execz .LBB42_20
.LBB42_24:                              ;   in Loop: Header=BB42_8 Depth=2
	v_div_scale_f64 v[19:20], null, v[15:16], v[15:16], v[17:18]
	v_div_scale_f64 v[31:32], vcc_lo, v[17:18], v[15:16], v[17:18]
	v_rcp_f64_e32 v[27:28], v[19:20]
	v_fma_f64 v[29:30], -v[19:20], v[27:28], 1.0
	v_fma_f64 v[27:28], v[27:28], v[29:30], v[27:28]
	v_fma_f64 v[29:30], -v[19:20], v[27:28], 1.0
	v_fma_f64 v[27:28], v[27:28], v[29:30], v[27:28]
	v_mul_f64 v[29:30], v[31:32], v[27:28]
	v_fma_f64 v[19:20], -v[19:20], v[29:30], v[31:32]
	v_div_fmas_f64 v[19:20], v[19:20], v[27:28], v[29:30]
	v_div_fixup_f64 v[17:18], v[19:20], v[15:16], v[17:18]
	v_fma_f64 v[17:18], v[17:18], v[17:18], 1.0
	v_cmp_gt_f64_e32 vcc_lo, 0x10000000, v[17:18]
	v_cndmask_b32_e64 v6, 0, 0x100, vcc_lo
	v_ldexp_f64 v[17:18], v[17:18], v6
	v_cndmask_b32_e64 v6, 0, 0xffffff80, vcc_lo
	v_rsq_f64_e32 v[19:20], v[17:18]
	v_cmp_class_f64_e64 vcc_lo, v[17:18], 0x260
	v_mul_f64 v[27:28], v[17:18], v[19:20]
	v_mul_f64 v[19:20], v[19:20], 0.5
	v_fma_f64 v[29:30], -v[19:20], v[27:28], 0.5
	v_fma_f64 v[27:28], v[27:28], v[29:30], v[27:28]
	v_fma_f64 v[19:20], v[19:20], v[29:30], v[19:20]
	v_fma_f64 v[29:30], -v[27:28], v[27:28], v[17:18]
	v_fma_f64 v[27:28], v[29:30], v[19:20], v[27:28]
	v_fma_f64 v[29:30], -v[27:28], v[27:28], v[17:18]
	v_fma_f64 v[19:20], v[29:30], v[19:20], v[27:28]
	v_ldexp_f64 v[19:20], v[19:20], v6
	v_cndmask_b32_e32 v18, v20, v18, vcc_lo
	v_cndmask_b32_e32 v17, v19, v17, vcc_lo
	v_mul_f64 v[19:20], v[15:16], v[17:18]
	s_or_b32 exec_lo, exec_lo, s37
	v_cmp_class_f64_e64 s38, v[19:20], 0x1f8
	s_and_saveexec_b32 s37, s38
	s_cbranch_execz .LBB42_7
.LBB42_25:                              ;   in Loop: Header=BB42_8 Depth=2
	s_mov_b32 s38, 0
                                        ; implicit-def: $vgpr15_vgpr16
	s_and_saveexec_b32 s39, s1
	s_xor_b32 s1, exec_lo, s39
	s_cbranch_execnz .LBB42_28
; %bb.26:                               ;   in Loop: Header=BB42_8 Depth=2
	s_andn2_saveexec_b32 s1, s1
	s_cbranch_execnz .LBB42_41
.LBB42_27:                              ;   in Loop: Header=BB42_8 Depth=2
	s_or_b32 exec_lo, exec_lo, s1
	s_and_b32 exec_lo, exec_lo, s38
	s_cbranch_execz .LBB42_7
	s_branch .LBB42_50
.LBB42_28:                              ;   in Loop: Header=BB42_8 Depth=2
	s_mov_b32 s39, exec_lo
                                        ; implicit-def: $vgpr15_vgpr16
	v_cmpx_ge_i32_e64 v0, v7
	s_xor_b32 s39, exec_lo, s39
	s_cbranch_execz .LBB42_30
; %bb.29:                               ;   in Loop: Header=BB42_8 Depth=2
	v_lshlrev_b64 v[6:7], 4, v[7:8]
	s_mov_b32 s38, exec_lo
                                        ; implicit-def: $vgpr12
                                        ; implicit-def: $vgpr26
                                        ; implicit-def: $vgpr11
	v_add_co_u32 v15, vcc_lo, s2, v6
	v_add_co_ci_u32_e64 v16, null, s3, v7, vcc_lo
	global_store_dwordx2 v[15:16], v[13:14], off
                                        ; implicit-def: $vgpr13_vgpr14
.LBB42_30:                              ;   in Loop: Header=BB42_8 Depth=2
	s_andn2_saveexec_b32 s39, s39
	s_cbranch_execz .LBB42_40
; %bb.31:                               ;   in Loop: Header=BB42_8 Depth=2
	s_mov_b32 s41, s38
	s_mov_b32 s40, exec_lo
                                        ; implicit-def: $vgpr15_vgpr16
	v_cmpx_lt_i32_e64 v12, v26
	s_cbranch_execz .LBB42_39
; %bb.32:                               ;   in Loop: Header=BB42_8 Depth=2
	s_mov_b32 s42, 0
                                        ; implicit-def: $sgpr41
                                        ; implicit-def: $sgpr44
                                        ; implicit-def: $sgpr43
	s_inst_prefetch 0x1
	s_branch .LBB42_34
	.p2align	6
.LBB42_33:                              ;   in Loop: Header=BB42_34 Depth=3
	s_or_b32 exec_lo, exec_lo, s45
	s_and_b32 s45, exec_lo, s44
	s_or_b32 s42, s45, s42
	s_andn2_b32 s41, s41, exec_lo
	s_and_b32 s45, s43, exec_lo
	s_or_b32 s41, s41, s45
	s_andn2_b32 exec_lo, exec_lo, s42
	s_cbranch_execz .LBB42_36
.LBB42_34:                              ;   Parent Loop BB42_4 Depth=1
                                        ;     Parent Loop BB42_8 Depth=2
                                        ; =>    This Inner Loop Header: Depth=3
	v_add_nc_u32_e32 v6, v11, v12
	s_or_b32 s43, s43, exec_lo
	s_or_b32 s44, s44, exec_lo
	s_mov_b32 s45, exec_lo
	v_ashrrev_i32_e32 v7, 31, v6
	v_lshlrev_b64 v[15:16], 2, v[6:7]
	v_add_co_u32 v15, vcc_lo, s12, v15
	v_add_co_ci_u32_e64 v16, null, s13, v16, vcc_lo
	global_load_dword v1, v[15:16], off
	s_waitcnt vmcnt(0)
	v_subrev_nc_u32_e32 v1, s4, v1
	v_cmpx_ne_u32_e64 v1, v0
	s_cbranch_execz .LBB42_33
; %bb.35:                               ;   in Loop: Header=BB42_34 Depth=3
	v_add_nc_u32_e32 v12, 1, v12
	s_andn2_b32 s44, s44, exec_lo
	s_andn2_b32 s43, s43, exec_lo
	v_cmp_ge_i32_e32 vcc_lo, v12, v26
	s_and_b32 s46, vcc_lo, exec_lo
	s_or_b32 s44, s44, s46
	s_branch .LBB42_33
.LBB42_36:                              ;   in Loop: Header=BB42_8 Depth=2
	s_inst_prefetch 0x2
	s_or_b32 exec_lo, exec_lo, s42
	s_mov_b32 s42, s38
                                        ; implicit-def: $vgpr15_vgpr16
	s_and_saveexec_b32 s43, s41
	s_xor_b32 s41, exec_lo, s43
	s_cbranch_execz .LBB42_38
; %bb.37:                               ;   in Loop: Header=BB42_8 Depth=2
	v_lshlrev_b64 v[6:7], 4, v[6:7]
	s_or_b32 s42, s38, exec_lo
	v_add_co_u32 v15, vcc_lo, s14, v6
	v_add_co_ci_u32_e64 v16, null, s15, v7, vcc_lo
	global_store_dwordx2 v[15:16], v[13:14], off
.LBB42_38:                              ;   in Loop: Header=BB42_8 Depth=2
	s_or_b32 exec_lo, exec_lo, s41
	s_andn2_b32 s41, s38, exec_lo
	s_and_b32 s42, s42, exec_lo
	s_or_b32 s41, s41, s42
.LBB42_39:                              ;   in Loop: Header=BB42_8 Depth=2
	s_or_b32 exec_lo, exec_lo, s40
	s_andn2_b32 s38, s38, exec_lo
	s_and_b32 s40, s41, exec_lo
	s_or_b32 s38, s38, s40
.LBB42_40:                              ;   in Loop: Header=BB42_8 Depth=2
	s_or_b32 exec_lo, exec_lo, s39
	s_and_b32 s38, s38, exec_lo
                                        ; implicit-def: $vgpr13_vgpr14
                                        ; implicit-def: $vgpr7_vgpr8
	s_andn2_saveexec_b32 s1, s1
	s_cbranch_execz .LBB42_27
.LBB42_41:                              ;   in Loop: Header=BB42_8 Depth=2
	s_mov_b32 s40, s38
	s_mov_b32 s39, exec_lo
                                        ; implicit-def: $vgpr15_vgpr16
	v_cmpx_lt_i32_e64 v1, v22
	s_cbranch_execz .LBB42_49
; %bb.42:                               ;   in Loop: Header=BB42_8 Depth=2
	s_mov_b32 s41, 0
                                        ; implicit-def: $sgpr40
                                        ; implicit-def: $sgpr43
                                        ; implicit-def: $sgpr42
	s_inst_prefetch 0x1
	s_branch .LBB42_44
	.p2align	6
.LBB42_43:                              ;   in Loop: Header=BB42_44 Depth=3
	s_or_b32 exec_lo, exec_lo, s44
	s_and_b32 s44, exec_lo, s43
	s_or_b32 s41, s44, s41
	s_andn2_b32 s40, s40, exec_lo
	s_and_b32 s44, s42, exec_lo
	s_or_b32 s40, s40, s44
	s_andn2_b32 exec_lo, exec_lo, s41
	s_cbranch_execz .LBB42_46
.LBB42_44:                              ;   Parent Loop BB42_4 Depth=1
                                        ;     Parent Loop BB42_8 Depth=2
                                        ; =>    This Inner Loop Header: Depth=3
	v_add_nc_u32_e32 v11, v3, v1
	s_or_b32 s42, s42, exec_lo
	s_or_b32 s43, s43, exec_lo
	s_mov_b32 s44, exec_lo
	v_ashrrev_i32_e32 v12, 31, v11
	v_lshlrev_b64 v[15:16], 2, v[11:12]
	v_add_co_u32 v15, vcc_lo, s20, v15
	v_add_co_ci_u32_e64 v16, null, s21, v16, vcc_lo
	global_load_dword v6, v[15:16], off
	s_waitcnt vmcnt(0)
	v_subrev_nc_u32_e32 v6, s34, v6
	v_cmpx_ne_u32_e64 v6, v7
	s_cbranch_execz .LBB42_43
; %bb.45:                               ;   in Loop: Header=BB42_44 Depth=3
	v_add_nc_u32_e32 v1, 1, v1
	s_andn2_b32 s43, s43, exec_lo
	s_andn2_b32 s42, s42, exec_lo
	v_cmp_ge_i32_e32 vcc_lo, v1, v22
	s_and_b32 s45, vcc_lo, exec_lo
	s_or_b32 s43, s43, s45
	s_branch .LBB42_43
.LBB42_46:                              ;   in Loop: Header=BB42_8 Depth=2
	s_inst_prefetch 0x2
	s_or_b32 exec_lo, exec_lo, s41
	s_mov_b32 s41, s38
                                        ; implicit-def: $vgpr15_vgpr16
	s_and_saveexec_b32 s42, s40
	s_xor_b32 s40, exec_lo, s42
	s_cbranch_execz .LBB42_48
; %bb.47:                               ;   in Loop: Header=BB42_8 Depth=2
	v_lshlrev_b64 v[6:7], 4, v[11:12]
	s_or_b32 s41, s38, exec_lo
	v_add_co_u32 v15, vcc_lo, s22, v6
	v_add_co_ci_u32_e64 v16, null, s23, v7, vcc_lo
	global_store_dwordx2 v[15:16], v[13:14], off
.LBB42_48:                              ;   in Loop: Header=BB42_8 Depth=2
	s_or_b32 exec_lo, exec_lo, s40
	s_andn2_b32 s40, s38, exec_lo
	s_and_b32 s41, s41, exec_lo
	s_or_b32 s40, s40, s41
.LBB42_49:                              ;   in Loop: Header=BB42_8 Depth=2
	s_or_b32 exec_lo, exec_lo, s39
	s_andn2_b32 s38, s38, exec_lo
	s_and_b32 s39, s40, exec_lo
	s_or_b32 s38, s38, s39
	s_or_b32 exec_lo, exec_lo, s1
	s_and_b32 exec_lo, exec_lo, s38
	s_cbranch_execz .LBB42_7
.LBB42_50:                              ;   in Loop: Header=BB42_8 Depth=2
	global_store_dwordx2 v[15:16], v[9:10], off offset:8
	s_branch .LBB42_7
.LBB42_51:
	s_endpgm
	.section	.rodata,"a",@progbits
	.p2align	6, 0x0
	.amdhsa_kernel _ZN9rocsparseL25kernel_correction_no_normILi1024ELi1E21rocsparse_complex_numIdEiiEEvT3_T2_PKS4_S6_PKS3_PKT1_21rocsparse_index_base_S6_S6_S8_PS9_SC_S6_S6_S8_SD_SC_SD_
		.amdhsa_group_segment_fixed_size 0
		.amdhsa_private_segment_fixed_size 0
		.amdhsa_kernarg_size 136
		.amdhsa_user_sgpr_count 6
		.amdhsa_user_sgpr_private_segment_buffer 1
		.amdhsa_user_sgpr_dispatch_ptr 0
		.amdhsa_user_sgpr_queue_ptr 0
		.amdhsa_user_sgpr_kernarg_segment_ptr 1
		.amdhsa_user_sgpr_dispatch_id 0
		.amdhsa_user_sgpr_flat_scratch_init 0
		.amdhsa_user_sgpr_private_segment_size 0
		.amdhsa_wavefront_size32 1
		.amdhsa_uses_dynamic_stack 0
		.amdhsa_system_sgpr_private_segment_wavefront_offset 0
		.amdhsa_system_sgpr_workgroup_id_x 1
		.amdhsa_system_sgpr_workgroup_id_y 0
		.amdhsa_system_sgpr_workgroup_id_z 0
		.amdhsa_system_sgpr_workgroup_info 0
		.amdhsa_system_vgpr_workitem_id 0
		.amdhsa_next_free_vgpr 36
		.amdhsa_next_free_sgpr 47
		.amdhsa_reserve_vcc 1
		.amdhsa_reserve_flat_scratch 0
		.amdhsa_float_round_mode_32 0
		.amdhsa_float_round_mode_16_64 0
		.amdhsa_float_denorm_mode_32 3
		.amdhsa_float_denorm_mode_16_64 3
		.amdhsa_dx10_clamp 1
		.amdhsa_ieee_mode 1
		.amdhsa_fp16_overflow 0
		.amdhsa_workgroup_processor_mode 1
		.amdhsa_memory_ordered 1
		.amdhsa_forward_progress 1
		.amdhsa_shared_vgpr_count 0
		.amdhsa_exception_fp_ieee_invalid_op 0
		.amdhsa_exception_fp_denorm_src 0
		.amdhsa_exception_fp_ieee_div_zero 0
		.amdhsa_exception_fp_ieee_overflow 0
		.amdhsa_exception_fp_ieee_underflow 0
		.amdhsa_exception_fp_ieee_inexact 0
		.amdhsa_exception_int_div_zero 0
	.end_amdhsa_kernel
	.section	.text._ZN9rocsparseL25kernel_correction_no_normILi1024ELi1E21rocsparse_complex_numIdEiiEEvT3_T2_PKS4_S6_PKS3_PKT1_21rocsparse_index_base_S6_S6_S8_PS9_SC_S6_S6_S8_SD_SC_SD_,"axG",@progbits,_ZN9rocsparseL25kernel_correction_no_normILi1024ELi1E21rocsparse_complex_numIdEiiEEvT3_T2_PKS4_S6_PKS3_PKT1_21rocsparse_index_base_S6_S6_S8_PS9_SC_S6_S6_S8_SD_SC_SD_,comdat
.Lfunc_end42:
	.size	_ZN9rocsparseL25kernel_correction_no_normILi1024ELi1E21rocsparse_complex_numIdEiiEEvT3_T2_PKS4_S6_PKS3_PKT1_21rocsparse_index_base_S6_S6_S8_PS9_SC_S6_S6_S8_SD_SC_SD_, .Lfunc_end42-_ZN9rocsparseL25kernel_correction_no_normILi1024ELi1E21rocsparse_complex_numIdEiiEEvT3_T2_PKS4_S6_PKS3_PKT1_21rocsparse_index_base_S6_S6_S8_PS9_SC_S6_S6_S8_SD_SC_SD_
                                        ; -- End function
	.set _ZN9rocsparseL25kernel_correction_no_normILi1024ELi1E21rocsparse_complex_numIdEiiEEvT3_T2_PKS4_S6_PKS3_PKT1_21rocsparse_index_base_S6_S6_S8_PS9_SC_S6_S6_S8_SD_SC_SD_.num_vgpr, 36
	.set _ZN9rocsparseL25kernel_correction_no_normILi1024ELi1E21rocsparse_complex_numIdEiiEEvT3_T2_PKS4_S6_PKS3_PKT1_21rocsparse_index_base_S6_S6_S8_PS9_SC_S6_S6_S8_SD_SC_SD_.num_agpr, 0
	.set _ZN9rocsparseL25kernel_correction_no_normILi1024ELi1E21rocsparse_complex_numIdEiiEEvT3_T2_PKS4_S6_PKS3_PKT1_21rocsparse_index_base_S6_S6_S8_PS9_SC_S6_S6_S8_SD_SC_SD_.numbered_sgpr, 47
	.set _ZN9rocsparseL25kernel_correction_no_normILi1024ELi1E21rocsparse_complex_numIdEiiEEvT3_T2_PKS4_S6_PKS3_PKT1_21rocsparse_index_base_S6_S6_S8_PS9_SC_S6_S6_S8_SD_SC_SD_.num_named_barrier, 0
	.set _ZN9rocsparseL25kernel_correction_no_normILi1024ELi1E21rocsparse_complex_numIdEiiEEvT3_T2_PKS4_S6_PKS3_PKT1_21rocsparse_index_base_S6_S6_S8_PS9_SC_S6_S6_S8_SD_SC_SD_.private_seg_size, 0
	.set _ZN9rocsparseL25kernel_correction_no_normILi1024ELi1E21rocsparse_complex_numIdEiiEEvT3_T2_PKS4_S6_PKS3_PKT1_21rocsparse_index_base_S6_S6_S8_PS9_SC_S6_S6_S8_SD_SC_SD_.uses_vcc, 1
	.set _ZN9rocsparseL25kernel_correction_no_normILi1024ELi1E21rocsparse_complex_numIdEiiEEvT3_T2_PKS4_S6_PKS3_PKT1_21rocsparse_index_base_S6_S6_S8_PS9_SC_S6_S6_S8_SD_SC_SD_.uses_flat_scratch, 0
	.set _ZN9rocsparseL25kernel_correction_no_normILi1024ELi1E21rocsparse_complex_numIdEiiEEvT3_T2_PKS4_S6_PKS3_PKT1_21rocsparse_index_base_S6_S6_S8_PS9_SC_S6_S6_S8_SD_SC_SD_.has_dyn_sized_stack, 0
	.set _ZN9rocsparseL25kernel_correction_no_normILi1024ELi1E21rocsparse_complex_numIdEiiEEvT3_T2_PKS4_S6_PKS3_PKT1_21rocsparse_index_base_S6_S6_S8_PS9_SC_S6_S6_S8_SD_SC_SD_.has_recursion, 0
	.set _ZN9rocsparseL25kernel_correction_no_normILi1024ELi1E21rocsparse_complex_numIdEiiEEvT3_T2_PKS4_S6_PKS3_PKT1_21rocsparse_index_base_S6_S6_S8_PS9_SC_S6_S6_S8_SD_SC_SD_.has_indirect_call, 0
	.section	.AMDGPU.csdata,"",@progbits
; Kernel info:
; codeLenInByte = 2556
; TotalNumSgprs: 49
; NumVgprs: 36
; ScratchSize: 0
; MemoryBound: 1
; FloatMode: 240
; IeeeMode: 1
; LDSByteSize: 0 bytes/workgroup (compile time only)
; SGPRBlocks: 0
; VGPRBlocks: 4
; NumSGPRsForWavesPerEU: 49
; NumVGPRsForWavesPerEU: 36
; Occupancy: 16
; WaveLimiterHint : 1
; COMPUTE_PGM_RSRC2:SCRATCH_EN: 0
; COMPUTE_PGM_RSRC2:USER_SGPR: 6
; COMPUTE_PGM_RSRC2:TRAP_HANDLER: 0
; COMPUTE_PGM_RSRC2:TGID_X_EN: 1
; COMPUTE_PGM_RSRC2:TGID_Y_EN: 0
; COMPUTE_PGM_RSRC2:TGID_Z_EN: 0
; COMPUTE_PGM_RSRC2:TIDIG_COMP_CNT: 0
	.section	.text._ZN9rocsparseL25kernel_correction_no_normILi1024ELi2E21rocsparse_complex_numIdEiiEEvT3_T2_PKS4_S6_PKS3_PKT1_21rocsparse_index_base_S6_S6_S8_PS9_SC_S6_S6_S8_SD_SC_SD_,"axG",@progbits,_ZN9rocsparseL25kernel_correction_no_normILi1024ELi2E21rocsparse_complex_numIdEiiEEvT3_T2_PKS4_S6_PKS3_PKT1_21rocsparse_index_base_S6_S6_S8_PS9_SC_S6_S6_S8_SD_SC_SD_,comdat
	.globl	_ZN9rocsparseL25kernel_correction_no_normILi1024ELi2E21rocsparse_complex_numIdEiiEEvT3_T2_PKS4_S6_PKS3_PKT1_21rocsparse_index_base_S6_S6_S8_PS9_SC_S6_S6_S8_SD_SC_SD_ ; -- Begin function _ZN9rocsparseL25kernel_correction_no_normILi1024ELi2E21rocsparse_complex_numIdEiiEEvT3_T2_PKS4_S6_PKS3_PKT1_21rocsparse_index_base_S6_S6_S8_PS9_SC_S6_S6_S8_SD_SC_SD_
	.p2align	8
	.type	_ZN9rocsparseL25kernel_correction_no_normILi1024ELi2E21rocsparse_complex_numIdEiiEEvT3_T2_PKS4_S6_PKS3_PKT1_21rocsparse_index_base_S6_S6_S8_PS9_SC_S6_S6_S8_SD_SC_SD_,@function
_ZN9rocsparseL25kernel_correction_no_normILi1024ELi2E21rocsparse_complex_numIdEiiEEvT3_T2_PKS4_S6_PKS3_PKT1_21rocsparse_index_base_S6_S6_S8_PS9_SC_S6_S6_S8_SD_SC_SD_: ; @_ZN9rocsparseL25kernel_correction_no_normILi1024ELi2E21rocsparse_complex_numIdEiiEEvT3_T2_PKS4_S6_PKS3_PKT1_21rocsparse_index_base_S6_S6_S8_PS9_SC_S6_S6_S8_SD_SC_SD_
; %bb.0:
	s_load_dword s7, s[4:5], 0x0
	v_lshrrev_b32_e32 v1, 1, v0
	s_lshl_b32 s6, s6, 10
	s_mov_b32 s0, exec_lo
	v_or_b32_e32 v1, s6, v1
	s_waitcnt lgkmcnt(0)
	v_cmpx_gt_i32_e64 s7, v1
	s_cbranch_execz .LBB43_51
; %bb.1:
	s_addk_i32 s6, 0x400
	v_cmp_gt_u32_e32 vcc_lo, s6, v1
	s_and_b32 exec_lo, exec_lo, vcc_lo
	s_cbranch_execz .LBB43_51
; %bb.2:
	s_clause 0x6
	s_load_dword s33, s[4:5], 0x28
	s_load_dwordx8 s[8:15], s[4:5], 0x58
	s_load_dwordx8 s[16:23], s[4:5], 0x30
	;; [unrolled: 1-line block ×3, first 2 shown]
	s_load_dword s34, s[4:5], 0x50
	s_load_dwordx2 s[2:3], s[4:5], 0x80
	s_load_dword s4, s[4:5], 0x78
	v_and_b32_e32 v0, 1, v0
	v_mov_b32_e32 v3, 0
	s_mov_b32 s5, 0
	s_waitcnt lgkmcnt(0)
	v_subrev_nc_u32_e32 v0, s33, v0
	s_branch .LBB43_4
.LBB43_3:                               ;   in Loop: Header=BB43_4 Depth=1
	s_or_b32 exec_lo, exec_lo, s35
	v_add_nc_u32_e32 v1, 0x200, v1
	v_cmp_le_u32_e32 vcc_lo, s6, v1
	s_or_b32 s5, vcc_lo, s5
	s_andn2_b32 exec_lo, exec_lo, s5
	s_cbranch_execz .LBB43_51
.LBB43_4:                               ; =>This Loop Header: Depth=1
                                        ;     Child Loop BB43_8 Depth 2
                                        ;       Child Loop BB43_12 Depth 3
                                        ;       Child Loop BB43_34 Depth 3
                                        ;       Child Loop BB43_44 Depth 3
	s_mov_b32 s35, exec_lo
	v_cmpx_gt_i32_e64 s7, v1
	s_cbranch_execz .LBB43_3
; %bb.5:                                ;   in Loop: Header=BB43_4 Depth=1
	v_ashrrev_i32_e32 v2, 31, v1
	v_lshlrev_b64 v[5:6], 2, v[1:2]
	v_add_co_u32 v7, vcc_lo, s24, v5
	v_add_co_ci_u32_e64 v8, null, s25, v6, vcc_lo
	v_add_co_u32 v9, vcc_lo, s26, v5
	v_add_co_ci_u32_e64 v10, null, s27, v6, vcc_lo
	global_load_dword v2, v[7:8], off
	global_load_dword v7, v[9:10], off
	s_waitcnt vmcnt(1)
	v_add_nc_u32_e32 v4, v0, v2
	s_waitcnt vmcnt(0)
	v_subrev_nc_u32_e32 v21, s33, v7
	v_cmp_lt_i32_e32 vcc_lo, v4, v21
	s_and_b32 exec_lo, exec_lo, vcc_lo
	s_cbranch_execz .LBB43_3
; %bb.6:                                ;   in Loop: Header=BB43_4 Depth=1
	v_add_co_u32 v7, vcc_lo, s16, v5
	v_add_co_ci_u32_e64 v8, null, s17, v6, vcc_lo
	v_add_co_u32 v5, vcc_lo, s18, v5
	v_add_co_ci_u32_e64 v6, null, s19, v6, vcc_lo
	global_load_dword v2, v[7:8], off
	s_mov_b32 s36, 0
	global_load_dword v5, v[5:6], off
	s_waitcnt vmcnt(1)
	v_subrev_nc_u32_e32 v6, s34, v2
	s_waitcnt vmcnt(0)
	v_sub_nc_u32_e32 v22, v5, v2
	v_ashrrev_i32_e32 v7, 31, v6
	v_cmp_lt_i32_e64 s0, 0, v22
	v_lshlrev_b64 v[8:9], 2, v[6:7]
	v_lshlrev_b64 v[10:11], 4, v[6:7]
	v_add_co_u32 v23, vcc_lo, s20, v8
	v_add_co_ci_u32_e64 v24, null, s21, v9, vcc_lo
	v_add_co_u32 v25, vcc_lo, s22, v10
	v_add_co_ci_u32_e64 v26, null, s23, v11, vcc_lo
	s_branch .LBB43_8
.LBB43_7:                               ;   in Loop: Header=BB43_8 Depth=2
	s_or_b32 exec_lo, exec_lo, s37
	v_add_nc_u32_e32 v4, 2, v4
	v_cmp_ge_i32_e32 vcc_lo, v4, v21
	s_or_b32 s36, vcc_lo, s36
	s_andn2_b32 exec_lo, exec_lo, s36
	s_cbranch_execz .LBB43_3
.LBB43_8:                               ;   Parent Loop BB43_4 Depth=1
                                        ; =>  This Loop Header: Depth=2
                                        ;       Child Loop BB43_12 Depth 3
                                        ;       Child Loop BB43_34 Depth 3
	;; [unrolled: 1-line block ×3, first 2 shown]
	v_ashrrev_i32_e32 v5, 31, v4
	v_mov_b32_e32 v15, 0
	v_mov_b32_e32 v16, 0
	v_lshlrev_b64 v[7:8], 2, v[4:5]
	v_add_co_u32 v7, vcc_lo, s28, v7
	v_add_co_ci_u32_e64 v8, null, s29, v8, vcc_lo
	global_load_dword v2, v[7:8], off
	s_waitcnt vmcnt(0)
	v_subrev_nc_u32_e32 v7, s33, v2
	v_mov_b32_e32 v2, 0
	v_ashrrev_i32_e32 v8, 31, v7
	v_lshlrev_b64 v[9:10], 2, v[7:8]
	v_add_co_u32 v11, vcc_lo, s8, v9
	v_add_co_ci_u32_e64 v12, null, s9, v10, vcc_lo
	v_add_co_u32 v9, vcc_lo, s10, v9
	v_add_co_ci_u32_e64 v10, null, s11, v10, vcc_lo
	global_load_dword v12, v[11:12], off
	global_load_dword v13, v[9:10], off
	v_mov_b32_e32 v9, 0
	v_mov_b32_e32 v10, 0
	s_waitcnt vmcnt(1)
	v_subrev_nc_u32_e32 v11, s4, v12
	s_waitcnt vmcnt(0)
	v_sub_nc_u32_e32 v27, v13, v12
	v_mov_b32_e32 v12, v2
	s_and_saveexec_b32 s37, s0
	s_cbranch_execz .LBB43_16
; %bb.9:                                ;   in Loop: Header=BB43_8 Depth=2
	v_ashrrev_i32_e32 v12, 31, v11
	v_mov_b32_e32 v9, 0
	v_mov_b32_e32 v10, 0
	;; [unrolled: 1-line block ×3, first 2 shown]
	s_mov_b32 s38, 0
	v_lshlrev_b64 v[14:15], 2, v[11:12]
	v_lshlrev_b64 v[12:13], 4, v[11:12]
                                        ; implicit-def: $sgpr39
	v_add_co_u32 v14, vcc_lo, s12, v14
	v_add_co_ci_u32_e64 v17, null, s13, v15, vcc_lo
	v_add_co_u32 v18, vcc_lo, s14, v12
	v_mov_b32_e32 v15, 0
	v_add_co_ci_u32_e64 v19, null, s15, v13, vcc_lo
	v_mov_b32_e32 v12, 0
	v_mov_b32_e32 v16, 0
	s_branch .LBB43_12
.LBB43_10:                              ;   in Loop: Header=BB43_12 Depth=3
	s_or_b32 exec_lo, exec_lo, s1
	v_cmp_le_i32_e32 vcc_lo, v20, v28
	v_cmp_ge_i32_e64 s1, v20, v28
	v_add_co_ci_u32_e64 v2, null, 0, v2, vcc_lo
	v_add_co_ci_u32_e64 v12, null, 0, v12, s1
	s_andn2_b32 s1, s39, exec_lo
	v_cmp_ge_i32_e32 vcc_lo, v2, v22
	s_and_b32 s39, vcc_lo, exec_lo
	s_or_b32 s39, s1, s39
.LBB43_11:                              ;   in Loop: Header=BB43_12 Depth=3
	s_or_b32 exec_lo, exec_lo, s40
	s_and_b32 s1, exec_lo, s39
	s_or_b32 s38, s1, s38
	s_andn2_b32 exec_lo, exec_lo, s38
	s_cbranch_execz .LBB43_15
.LBB43_12:                              ;   Parent Loop BB43_4 Depth=1
                                        ;     Parent Loop BB43_8 Depth=2
                                        ; =>    This Inner Loop Header: Depth=3
	s_or_b32 s39, s39, exec_lo
	s_mov_b32 s40, exec_lo
	v_cmpx_lt_i32_e64 v12, v27
	s_cbranch_execz .LBB43_11
; %bb.13:                               ;   in Loop: Header=BB43_12 Depth=3
	v_mov_b32_e32 v13, v3
	v_lshlrev_b64 v[28:29], 2, v[2:3]
	s_mov_b32 s1, exec_lo
	v_lshlrev_b64 v[30:31], 2, v[12:13]
	v_add_co_u32 v28, vcc_lo, v23, v28
	v_add_co_ci_u32_e64 v29, null, v24, v29, vcc_lo
	v_add_co_u32 v30, vcc_lo, v14, v30
	v_add_co_ci_u32_e64 v31, null, v17, v31, vcc_lo
	global_load_dword v20, v[28:29], off
	global_load_dword v28, v[30:31], off
	s_waitcnt vmcnt(1)
	v_subrev_nc_u32_e32 v20, s34, v20
	s_waitcnt vmcnt(0)
	v_subrev_nc_u32_e32 v28, s4, v28
	v_cmpx_eq_u32_e64 v20, v28
	s_cbranch_execz .LBB43_10
; %bb.14:                               ;   in Loop: Header=BB43_12 Depth=3
	v_lshlrev_b64 v[29:30], 4, v[2:3]
	v_lshlrev_b64 v[31:32], 4, v[12:13]
	v_add_co_u32 v29, vcc_lo, v25, v29
	v_add_co_ci_u32_e64 v30, null, v26, v30, vcc_lo
	v_add_co_u32 v33, vcc_lo, v18, v31
	v_add_co_ci_u32_e64 v34, null, v19, v32, vcc_lo
	global_load_dwordx4 v[29:32], v[29:30], off
	global_load_dwordx4 v[33:36], v[33:34], off
	s_waitcnt vmcnt(0)
	v_fma_f64 v[9:10], v[29:30], v[33:34], v[9:10]
	v_fma_f64 v[15:16], v[31:32], v[33:34], v[15:16]
	v_fma_f64 v[9:10], -v[31:32], v[35:36], v[9:10]
	v_fma_f64 v[15:16], v[29:30], v[35:36], v[15:16]
	s_branch .LBB43_10
.LBB43_15:                              ;   in Loop: Header=BB43_8 Depth=2
	s_or_b32 exec_lo, exec_lo, s38
.LBB43_16:                              ;   in Loop: Header=BB43_8 Depth=2
	s_or_b32 exec_lo, exec_lo, s37
	v_lshlrev_b64 v[13:14], 4, v[4:5]
	v_cmp_le_i32_e64 s1, v1, v7
	s_mov_b32 s37, exec_lo
	v_add_co_u32 v13, vcc_lo, s30, v13
	v_add_co_ci_u32_e64 v14, null, s31, v14, vcc_lo
	global_load_dwordx4 v[17:20], v[13:14], off
	s_waitcnt vmcnt(0)
	v_add_f64 v[13:14], v[17:18], -v[9:10]
	v_add_f64 v[9:10], v[19:20], -v[15:16]
	v_cmpx_gt_i32_e64 v1, v7
	s_cbranch_execz .LBB43_18
; %bb.17:                               ;   in Loop: Header=BB43_8 Depth=2
	v_lshlrev_b64 v[15:16], 4, v[7:8]
	v_add_co_u32 v15, vcc_lo, s2, v15
	v_add_co_ci_u32_e64 v16, null, s3, v16, vcc_lo
	global_load_dwordx4 v[15:18], v[15:16], off
	s_waitcnt vmcnt(0)
	v_mul_f64 v[19:20], v[17:18], v[17:18]
	v_fma_f64 v[19:20], v[15:16], v[15:16], v[19:20]
	v_div_scale_f64 v[28:29], null, v[19:20], v[19:20], 1.0
	v_div_scale_f64 v[34:35], vcc_lo, 1.0, v[19:20], 1.0
	v_rcp_f64_e32 v[30:31], v[28:29]
	v_fma_f64 v[32:33], -v[28:29], v[30:31], 1.0
	v_fma_f64 v[30:31], v[30:31], v[32:33], v[30:31]
	v_fma_f64 v[32:33], -v[28:29], v[30:31], 1.0
	v_fma_f64 v[30:31], v[30:31], v[32:33], v[30:31]
	v_mul_f64 v[32:33], v[34:35], v[30:31]
	v_fma_f64 v[28:29], -v[28:29], v[32:33], v[34:35]
	v_div_fmas_f64 v[28:29], v[28:29], v[30:31], v[32:33]
	v_mul_f64 v[30:31], v[9:10], v[17:18]
	v_mul_f64 v[17:18], v[17:18], -v[13:14]
	v_div_fixup_f64 v[19:20], v[28:29], v[19:20], 1.0
	v_fma_f64 v[13:14], v[13:14], v[15:16], v[30:31]
	v_fma_f64 v[9:10], v[9:10], v[15:16], v[17:18]
	v_mul_f64 v[13:14], v[13:14], v[19:20]
	v_mul_f64 v[9:10], v[9:10], v[19:20]
.LBB43_18:                              ;   in Loop: Header=BB43_8 Depth=2
	s_or_b32 exec_lo, exec_lo, s37
	v_cmp_gt_f64_e32 vcc_lo, 0, v[13:14]
	v_xor_b32_e32 v5, 0x80000000, v14
	v_xor_b32_e32 v17, 0x80000000, v10
	v_mov_b32_e32 v15, v13
	s_mov_b32 s37, exec_lo
                                        ; implicit-def: $vgpr19_vgpr20
	v_cndmask_b32_e32 v16, v14, v5, vcc_lo
	v_cmp_gt_f64_e32 vcc_lo, 0, v[9:10]
	v_cndmask_b32_e32 v18, v10, v17, vcc_lo
	v_mov_b32_e32 v17, v9
	v_cmpx_ngt_f64_e32 v[15:16], v[17:18]
	s_xor_b32 s37, exec_lo, s37
	s_cbranch_execnz .LBB43_21
; %bb.19:                               ;   in Loop: Header=BB43_8 Depth=2
	s_andn2_saveexec_b32 s37, s37
	s_cbranch_execnz .LBB43_24
.LBB43_20:                              ;   in Loop: Header=BB43_8 Depth=2
	s_or_b32 exec_lo, exec_lo, s37
	v_cmp_class_f64_e64 s38, v[19:20], 0x1f8
	s_and_saveexec_b32 s37, s38
	s_cbranch_execz .LBB43_7
	s_branch .LBB43_25
.LBB43_21:                              ;   in Loop: Header=BB43_8 Depth=2
	v_mov_b32_e32 v19, 0
	v_mov_b32_e32 v20, 0
	s_mov_b32 s38, exec_lo
	v_cmpx_neq_f64_e32 0, v[9:10]
	s_cbranch_execz .LBB43_23
; %bb.22:                               ;   in Loop: Header=BB43_8 Depth=2
	v_div_scale_f64 v[19:20], null, v[17:18], v[17:18], v[15:16]
	v_div_scale_f64 v[32:33], vcc_lo, v[15:16], v[17:18], v[15:16]
	v_rcp_f64_e32 v[28:29], v[19:20]
	v_fma_f64 v[30:31], -v[19:20], v[28:29], 1.0
	v_fma_f64 v[28:29], v[28:29], v[30:31], v[28:29]
	v_fma_f64 v[30:31], -v[19:20], v[28:29], 1.0
	v_fma_f64 v[28:29], v[28:29], v[30:31], v[28:29]
	v_mul_f64 v[30:31], v[32:33], v[28:29]
	v_fma_f64 v[19:20], -v[19:20], v[30:31], v[32:33]
	v_div_fmas_f64 v[19:20], v[19:20], v[28:29], v[30:31]
	v_div_fixup_f64 v[15:16], v[19:20], v[17:18], v[15:16]
	v_fma_f64 v[15:16], v[15:16], v[15:16], 1.0
	v_cmp_gt_f64_e32 vcc_lo, 0x10000000, v[15:16]
	v_cndmask_b32_e64 v5, 0, 0x100, vcc_lo
	v_ldexp_f64 v[15:16], v[15:16], v5
	v_cndmask_b32_e64 v5, 0, 0xffffff80, vcc_lo
	v_rsq_f64_e32 v[19:20], v[15:16]
	v_cmp_class_f64_e64 vcc_lo, v[15:16], 0x260
	v_mul_f64 v[28:29], v[15:16], v[19:20]
	v_mul_f64 v[19:20], v[19:20], 0.5
	v_fma_f64 v[30:31], -v[19:20], v[28:29], 0.5
	v_fma_f64 v[28:29], v[28:29], v[30:31], v[28:29]
	v_fma_f64 v[19:20], v[19:20], v[30:31], v[19:20]
	v_fma_f64 v[30:31], -v[28:29], v[28:29], v[15:16]
	v_fma_f64 v[28:29], v[30:31], v[19:20], v[28:29]
	v_fma_f64 v[30:31], -v[28:29], v[28:29], v[15:16]
	v_fma_f64 v[19:20], v[30:31], v[19:20], v[28:29]
	v_ldexp_f64 v[19:20], v[19:20], v5
	v_cndmask_b32_e32 v16, v20, v16, vcc_lo
	v_cndmask_b32_e32 v15, v19, v15, vcc_lo
	v_mul_f64 v[19:20], v[17:18], v[15:16]
.LBB43_23:                              ;   in Loop: Header=BB43_8 Depth=2
	s_or_b32 exec_lo, exec_lo, s38
                                        ; implicit-def: $vgpr15_vgpr16
                                        ; implicit-def: $vgpr17_vgpr18
	s_andn2_saveexec_b32 s37, s37
	s_cbranch_execz .LBB43_20
.LBB43_24:                              ;   in Loop: Header=BB43_8 Depth=2
	v_div_scale_f64 v[19:20], null, v[15:16], v[15:16], v[17:18]
	v_div_scale_f64 v[32:33], vcc_lo, v[17:18], v[15:16], v[17:18]
	v_rcp_f64_e32 v[28:29], v[19:20]
	v_fma_f64 v[30:31], -v[19:20], v[28:29], 1.0
	v_fma_f64 v[28:29], v[28:29], v[30:31], v[28:29]
	v_fma_f64 v[30:31], -v[19:20], v[28:29], 1.0
	v_fma_f64 v[28:29], v[28:29], v[30:31], v[28:29]
	v_mul_f64 v[30:31], v[32:33], v[28:29]
	v_fma_f64 v[19:20], -v[19:20], v[30:31], v[32:33]
	v_div_fmas_f64 v[19:20], v[19:20], v[28:29], v[30:31]
	v_div_fixup_f64 v[17:18], v[19:20], v[15:16], v[17:18]
	v_fma_f64 v[17:18], v[17:18], v[17:18], 1.0
	v_cmp_gt_f64_e32 vcc_lo, 0x10000000, v[17:18]
	v_cndmask_b32_e64 v5, 0, 0x100, vcc_lo
	v_ldexp_f64 v[17:18], v[17:18], v5
	v_cndmask_b32_e64 v5, 0, 0xffffff80, vcc_lo
	v_rsq_f64_e32 v[19:20], v[17:18]
	v_cmp_class_f64_e64 vcc_lo, v[17:18], 0x260
	v_mul_f64 v[28:29], v[17:18], v[19:20]
	v_mul_f64 v[19:20], v[19:20], 0.5
	v_fma_f64 v[30:31], -v[19:20], v[28:29], 0.5
	v_fma_f64 v[28:29], v[28:29], v[30:31], v[28:29]
	v_fma_f64 v[19:20], v[19:20], v[30:31], v[19:20]
	v_fma_f64 v[30:31], -v[28:29], v[28:29], v[17:18]
	v_fma_f64 v[28:29], v[30:31], v[19:20], v[28:29]
	v_fma_f64 v[30:31], -v[28:29], v[28:29], v[17:18]
	v_fma_f64 v[19:20], v[30:31], v[19:20], v[28:29]
	v_ldexp_f64 v[19:20], v[19:20], v5
	v_cndmask_b32_e32 v18, v20, v18, vcc_lo
	v_cndmask_b32_e32 v17, v19, v17, vcc_lo
	v_mul_f64 v[19:20], v[15:16], v[17:18]
	s_or_b32 exec_lo, exec_lo, s37
	v_cmp_class_f64_e64 s38, v[19:20], 0x1f8
	s_and_saveexec_b32 s37, s38
	s_cbranch_execz .LBB43_7
.LBB43_25:                              ;   in Loop: Header=BB43_8 Depth=2
	s_mov_b32 s38, 0
                                        ; implicit-def: $vgpr15_vgpr16
	s_and_saveexec_b32 s39, s1
	s_xor_b32 s1, exec_lo, s39
	s_cbranch_execnz .LBB43_28
; %bb.26:                               ;   in Loop: Header=BB43_8 Depth=2
	s_andn2_saveexec_b32 s1, s1
	s_cbranch_execnz .LBB43_41
.LBB43_27:                              ;   in Loop: Header=BB43_8 Depth=2
	s_or_b32 exec_lo, exec_lo, s1
	s_and_b32 exec_lo, exec_lo, s38
	s_cbranch_execz .LBB43_7
	s_branch .LBB43_50
.LBB43_28:                              ;   in Loop: Header=BB43_8 Depth=2
	s_mov_b32 s39, exec_lo
                                        ; implicit-def: $vgpr15_vgpr16
	v_cmpx_ge_i32_e64 v1, v7
	s_xor_b32 s39, exec_lo, s39
	s_cbranch_execz .LBB43_30
; %bb.29:                               ;   in Loop: Header=BB43_8 Depth=2
	v_lshlrev_b64 v[7:8], 4, v[7:8]
	s_mov_b32 s38, exec_lo
                                        ; implicit-def: $vgpr12
                                        ; implicit-def: $vgpr27
                                        ; implicit-def: $vgpr11
	v_add_co_u32 v15, vcc_lo, s2, v7
	v_add_co_ci_u32_e64 v16, null, s3, v8, vcc_lo
	global_store_dwordx2 v[15:16], v[13:14], off
                                        ; implicit-def: $vgpr13_vgpr14
.LBB43_30:                              ;   in Loop: Header=BB43_8 Depth=2
	s_andn2_saveexec_b32 s39, s39
	s_cbranch_execz .LBB43_40
; %bb.31:                               ;   in Loop: Header=BB43_8 Depth=2
	s_mov_b32 s41, s38
	s_mov_b32 s40, exec_lo
                                        ; implicit-def: $vgpr15_vgpr16
	v_cmpx_lt_i32_e64 v12, v27
	s_cbranch_execz .LBB43_39
; %bb.32:                               ;   in Loop: Header=BB43_8 Depth=2
	s_mov_b32 s42, 0
                                        ; implicit-def: $sgpr41
                                        ; implicit-def: $sgpr44
                                        ; implicit-def: $sgpr43
	s_inst_prefetch 0x1
	s_branch .LBB43_34
	.p2align	6
.LBB43_33:                              ;   in Loop: Header=BB43_34 Depth=3
	s_or_b32 exec_lo, exec_lo, s45
	s_and_b32 s45, exec_lo, s44
	s_or_b32 s42, s45, s42
	s_andn2_b32 s41, s41, exec_lo
	s_and_b32 s45, s43, exec_lo
	s_or_b32 s41, s41, s45
	s_andn2_b32 exec_lo, exec_lo, s42
	s_cbranch_execz .LBB43_36
.LBB43_34:                              ;   Parent Loop BB43_4 Depth=1
                                        ;     Parent Loop BB43_8 Depth=2
                                        ; =>    This Inner Loop Header: Depth=3
	v_add_nc_u32_e32 v7, v11, v12
	s_or_b32 s43, s43, exec_lo
	s_or_b32 s44, s44, exec_lo
	s_mov_b32 s45, exec_lo
	v_ashrrev_i32_e32 v8, 31, v7
	v_lshlrev_b64 v[15:16], 2, v[7:8]
	v_add_co_u32 v15, vcc_lo, s12, v15
	v_add_co_ci_u32_e64 v16, null, s13, v16, vcc_lo
	global_load_dword v2, v[15:16], off
	s_waitcnt vmcnt(0)
	v_subrev_nc_u32_e32 v2, s4, v2
	v_cmpx_ne_u32_e64 v2, v1
	s_cbranch_execz .LBB43_33
; %bb.35:                               ;   in Loop: Header=BB43_34 Depth=3
	v_add_nc_u32_e32 v12, 1, v12
	s_andn2_b32 s44, s44, exec_lo
	s_andn2_b32 s43, s43, exec_lo
	v_cmp_ge_i32_e32 vcc_lo, v12, v27
	s_and_b32 s46, vcc_lo, exec_lo
	s_or_b32 s44, s44, s46
	s_branch .LBB43_33
.LBB43_36:                              ;   in Loop: Header=BB43_8 Depth=2
	s_inst_prefetch 0x2
	s_or_b32 exec_lo, exec_lo, s42
	s_mov_b32 s42, s38
                                        ; implicit-def: $vgpr15_vgpr16
	s_and_saveexec_b32 s43, s41
	s_xor_b32 s41, exec_lo, s43
	s_cbranch_execz .LBB43_38
; %bb.37:                               ;   in Loop: Header=BB43_8 Depth=2
	v_lshlrev_b64 v[7:8], 4, v[7:8]
	s_or_b32 s42, s38, exec_lo
	v_add_co_u32 v15, vcc_lo, s14, v7
	v_add_co_ci_u32_e64 v16, null, s15, v8, vcc_lo
	global_store_dwordx2 v[15:16], v[13:14], off
.LBB43_38:                              ;   in Loop: Header=BB43_8 Depth=2
	s_or_b32 exec_lo, exec_lo, s41
	s_andn2_b32 s41, s38, exec_lo
	s_and_b32 s42, s42, exec_lo
	s_or_b32 s41, s41, s42
.LBB43_39:                              ;   in Loop: Header=BB43_8 Depth=2
	s_or_b32 exec_lo, exec_lo, s40
	s_andn2_b32 s38, s38, exec_lo
	s_and_b32 s40, s41, exec_lo
	s_or_b32 s38, s38, s40
.LBB43_40:                              ;   in Loop: Header=BB43_8 Depth=2
	s_or_b32 exec_lo, exec_lo, s39
	s_and_b32 s38, s38, exec_lo
                                        ; implicit-def: $vgpr13_vgpr14
                                        ; implicit-def: $vgpr7_vgpr8
	s_andn2_saveexec_b32 s1, s1
	s_cbranch_execz .LBB43_27
.LBB43_41:                              ;   in Loop: Header=BB43_8 Depth=2
	s_mov_b32 s40, s38
	s_mov_b32 s39, exec_lo
                                        ; implicit-def: $vgpr15_vgpr16
	v_cmpx_lt_i32_e64 v2, v22
	s_cbranch_execz .LBB43_49
; %bb.42:                               ;   in Loop: Header=BB43_8 Depth=2
	s_mov_b32 s41, 0
                                        ; implicit-def: $sgpr40
                                        ; implicit-def: $sgpr43
                                        ; implicit-def: $sgpr42
	s_inst_prefetch 0x1
	s_branch .LBB43_44
	.p2align	6
.LBB43_43:                              ;   in Loop: Header=BB43_44 Depth=3
	s_or_b32 exec_lo, exec_lo, s44
	s_and_b32 s44, exec_lo, s43
	s_or_b32 s41, s44, s41
	s_andn2_b32 s40, s40, exec_lo
	s_and_b32 s44, s42, exec_lo
	s_or_b32 s40, s40, s44
	s_andn2_b32 exec_lo, exec_lo, s41
	s_cbranch_execz .LBB43_46
.LBB43_44:                              ;   Parent Loop BB43_4 Depth=1
                                        ;     Parent Loop BB43_8 Depth=2
                                        ; =>    This Inner Loop Header: Depth=3
	v_add_nc_u32_e32 v11, v6, v2
	s_or_b32 s42, s42, exec_lo
	s_or_b32 s43, s43, exec_lo
	s_mov_b32 s44, exec_lo
	v_ashrrev_i32_e32 v12, 31, v11
	v_lshlrev_b64 v[15:16], 2, v[11:12]
	v_add_co_u32 v15, vcc_lo, s20, v15
	v_add_co_ci_u32_e64 v16, null, s21, v16, vcc_lo
	global_load_dword v5, v[15:16], off
	s_waitcnt vmcnt(0)
	v_subrev_nc_u32_e32 v5, s34, v5
	v_cmpx_ne_u32_e64 v5, v7
	s_cbranch_execz .LBB43_43
; %bb.45:                               ;   in Loop: Header=BB43_44 Depth=3
	v_add_nc_u32_e32 v2, 1, v2
	s_andn2_b32 s43, s43, exec_lo
	s_andn2_b32 s42, s42, exec_lo
	v_cmp_ge_i32_e32 vcc_lo, v2, v22
	s_and_b32 s45, vcc_lo, exec_lo
	s_or_b32 s43, s43, s45
	s_branch .LBB43_43
.LBB43_46:                              ;   in Loop: Header=BB43_8 Depth=2
	s_inst_prefetch 0x2
	s_or_b32 exec_lo, exec_lo, s41
	s_mov_b32 s41, s38
                                        ; implicit-def: $vgpr15_vgpr16
	s_and_saveexec_b32 s42, s40
	s_xor_b32 s40, exec_lo, s42
	s_cbranch_execz .LBB43_48
; %bb.47:                               ;   in Loop: Header=BB43_8 Depth=2
	v_lshlrev_b64 v[7:8], 4, v[11:12]
	s_or_b32 s41, s38, exec_lo
	v_add_co_u32 v15, vcc_lo, s22, v7
	v_add_co_ci_u32_e64 v16, null, s23, v8, vcc_lo
	global_store_dwordx2 v[15:16], v[13:14], off
.LBB43_48:                              ;   in Loop: Header=BB43_8 Depth=2
	s_or_b32 exec_lo, exec_lo, s40
	s_andn2_b32 s40, s38, exec_lo
	s_and_b32 s41, s41, exec_lo
	s_or_b32 s40, s40, s41
.LBB43_49:                              ;   in Loop: Header=BB43_8 Depth=2
	s_or_b32 exec_lo, exec_lo, s39
	s_andn2_b32 s38, s38, exec_lo
	s_and_b32 s39, s40, exec_lo
	s_or_b32 s38, s38, s39
	s_or_b32 exec_lo, exec_lo, s1
	s_and_b32 exec_lo, exec_lo, s38
	s_cbranch_execz .LBB43_7
.LBB43_50:                              ;   in Loop: Header=BB43_8 Depth=2
	global_store_dwordx2 v[15:16], v[9:10], off offset:8
	s_branch .LBB43_7
.LBB43_51:
	s_endpgm
	.section	.rodata,"a",@progbits
	.p2align	6, 0x0
	.amdhsa_kernel _ZN9rocsparseL25kernel_correction_no_normILi1024ELi2E21rocsparse_complex_numIdEiiEEvT3_T2_PKS4_S6_PKS3_PKT1_21rocsparse_index_base_S6_S6_S8_PS9_SC_S6_S6_S8_SD_SC_SD_
		.amdhsa_group_segment_fixed_size 0
		.amdhsa_private_segment_fixed_size 0
		.amdhsa_kernarg_size 136
		.amdhsa_user_sgpr_count 6
		.amdhsa_user_sgpr_private_segment_buffer 1
		.amdhsa_user_sgpr_dispatch_ptr 0
		.amdhsa_user_sgpr_queue_ptr 0
		.amdhsa_user_sgpr_kernarg_segment_ptr 1
		.amdhsa_user_sgpr_dispatch_id 0
		.amdhsa_user_sgpr_flat_scratch_init 0
		.amdhsa_user_sgpr_private_segment_size 0
		.amdhsa_wavefront_size32 1
		.amdhsa_uses_dynamic_stack 0
		.amdhsa_system_sgpr_private_segment_wavefront_offset 0
		.amdhsa_system_sgpr_workgroup_id_x 1
		.amdhsa_system_sgpr_workgroup_id_y 0
		.amdhsa_system_sgpr_workgroup_id_z 0
		.amdhsa_system_sgpr_workgroup_info 0
		.amdhsa_system_vgpr_workitem_id 0
		.amdhsa_next_free_vgpr 37
		.amdhsa_next_free_sgpr 47
		.amdhsa_reserve_vcc 1
		.amdhsa_reserve_flat_scratch 0
		.amdhsa_float_round_mode_32 0
		.amdhsa_float_round_mode_16_64 0
		.amdhsa_float_denorm_mode_32 3
		.amdhsa_float_denorm_mode_16_64 3
		.amdhsa_dx10_clamp 1
		.amdhsa_ieee_mode 1
		.amdhsa_fp16_overflow 0
		.amdhsa_workgroup_processor_mode 1
		.amdhsa_memory_ordered 1
		.amdhsa_forward_progress 1
		.amdhsa_shared_vgpr_count 0
		.amdhsa_exception_fp_ieee_invalid_op 0
		.amdhsa_exception_fp_denorm_src 0
		.amdhsa_exception_fp_ieee_div_zero 0
		.amdhsa_exception_fp_ieee_overflow 0
		.amdhsa_exception_fp_ieee_underflow 0
		.amdhsa_exception_fp_ieee_inexact 0
		.amdhsa_exception_int_div_zero 0
	.end_amdhsa_kernel
	.section	.text._ZN9rocsparseL25kernel_correction_no_normILi1024ELi2E21rocsparse_complex_numIdEiiEEvT3_T2_PKS4_S6_PKS3_PKT1_21rocsparse_index_base_S6_S6_S8_PS9_SC_S6_S6_S8_SD_SC_SD_,"axG",@progbits,_ZN9rocsparseL25kernel_correction_no_normILi1024ELi2E21rocsparse_complex_numIdEiiEEvT3_T2_PKS4_S6_PKS3_PKT1_21rocsparse_index_base_S6_S6_S8_PS9_SC_S6_S6_S8_SD_SC_SD_,comdat
.Lfunc_end43:
	.size	_ZN9rocsparseL25kernel_correction_no_normILi1024ELi2E21rocsparse_complex_numIdEiiEEvT3_T2_PKS4_S6_PKS3_PKT1_21rocsparse_index_base_S6_S6_S8_PS9_SC_S6_S6_S8_SD_SC_SD_, .Lfunc_end43-_ZN9rocsparseL25kernel_correction_no_normILi1024ELi2E21rocsparse_complex_numIdEiiEEvT3_T2_PKS4_S6_PKS3_PKT1_21rocsparse_index_base_S6_S6_S8_PS9_SC_S6_S6_S8_SD_SC_SD_
                                        ; -- End function
	.set _ZN9rocsparseL25kernel_correction_no_normILi1024ELi2E21rocsparse_complex_numIdEiiEEvT3_T2_PKS4_S6_PKS3_PKT1_21rocsparse_index_base_S6_S6_S8_PS9_SC_S6_S6_S8_SD_SC_SD_.num_vgpr, 37
	.set _ZN9rocsparseL25kernel_correction_no_normILi1024ELi2E21rocsparse_complex_numIdEiiEEvT3_T2_PKS4_S6_PKS3_PKT1_21rocsparse_index_base_S6_S6_S8_PS9_SC_S6_S6_S8_SD_SC_SD_.num_agpr, 0
	.set _ZN9rocsparseL25kernel_correction_no_normILi1024ELi2E21rocsparse_complex_numIdEiiEEvT3_T2_PKS4_S6_PKS3_PKT1_21rocsparse_index_base_S6_S6_S8_PS9_SC_S6_S6_S8_SD_SC_SD_.numbered_sgpr, 47
	.set _ZN9rocsparseL25kernel_correction_no_normILi1024ELi2E21rocsparse_complex_numIdEiiEEvT3_T2_PKS4_S6_PKS3_PKT1_21rocsparse_index_base_S6_S6_S8_PS9_SC_S6_S6_S8_SD_SC_SD_.num_named_barrier, 0
	.set _ZN9rocsparseL25kernel_correction_no_normILi1024ELi2E21rocsparse_complex_numIdEiiEEvT3_T2_PKS4_S6_PKS3_PKT1_21rocsparse_index_base_S6_S6_S8_PS9_SC_S6_S6_S8_SD_SC_SD_.private_seg_size, 0
	.set _ZN9rocsparseL25kernel_correction_no_normILi1024ELi2E21rocsparse_complex_numIdEiiEEvT3_T2_PKS4_S6_PKS3_PKT1_21rocsparse_index_base_S6_S6_S8_PS9_SC_S6_S6_S8_SD_SC_SD_.uses_vcc, 1
	.set _ZN9rocsparseL25kernel_correction_no_normILi1024ELi2E21rocsparse_complex_numIdEiiEEvT3_T2_PKS4_S6_PKS3_PKT1_21rocsparse_index_base_S6_S6_S8_PS9_SC_S6_S6_S8_SD_SC_SD_.uses_flat_scratch, 0
	.set _ZN9rocsparseL25kernel_correction_no_normILi1024ELi2E21rocsparse_complex_numIdEiiEEvT3_T2_PKS4_S6_PKS3_PKT1_21rocsparse_index_base_S6_S6_S8_PS9_SC_S6_S6_S8_SD_SC_SD_.has_dyn_sized_stack, 0
	.set _ZN9rocsparseL25kernel_correction_no_normILi1024ELi2E21rocsparse_complex_numIdEiiEEvT3_T2_PKS4_S6_PKS3_PKT1_21rocsparse_index_base_S6_S6_S8_PS9_SC_S6_S6_S8_SD_SC_SD_.has_recursion, 0
	.set _ZN9rocsparseL25kernel_correction_no_normILi1024ELi2E21rocsparse_complex_numIdEiiEEvT3_T2_PKS4_S6_PKS3_PKT1_21rocsparse_index_base_S6_S6_S8_PS9_SC_S6_S6_S8_SD_SC_SD_.has_indirect_call, 0
	.section	.AMDGPU.csdata,"",@progbits
; Kernel info:
; codeLenInByte = 2620
; TotalNumSgprs: 49
; NumVgprs: 37
; ScratchSize: 0
; MemoryBound: 1
; FloatMode: 240
; IeeeMode: 1
; LDSByteSize: 0 bytes/workgroup (compile time only)
; SGPRBlocks: 0
; VGPRBlocks: 4
; NumSGPRsForWavesPerEU: 49
; NumVGPRsForWavesPerEU: 37
; Occupancy: 16
; WaveLimiterHint : 1
; COMPUTE_PGM_RSRC2:SCRATCH_EN: 0
; COMPUTE_PGM_RSRC2:USER_SGPR: 6
; COMPUTE_PGM_RSRC2:TRAP_HANDLER: 0
; COMPUTE_PGM_RSRC2:TGID_X_EN: 1
; COMPUTE_PGM_RSRC2:TGID_Y_EN: 0
; COMPUTE_PGM_RSRC2:TGID_Z_EN: 0
; COMPUTE_PGM_RSRC2:TIDIG_COMP_CNT: 0
	.section	.text._ZN9rocsparseL25kernel_correction_no_normILi1024ELi4E21rocsparse_complex_numIdEiiEEvT3_T2_PKS4_S6_PKS3_PKT1_21rocsparse_index_base_S6_S6_S8_PS9_SC_S6_S6_S8_SD_SC_SD_,"axG",@progbits,_ZN9rocsparseL25kernel_correction_no_normILi1024ELi4E21rocsparse_complex_numIdEiiEEvT3_T2_PKS4_S6_PKS3_PKT1_21rocsparse_index_base_S6_S6_S8_PS9_SC_S6_S6_S8_SD_SC_SD_,comdat
	.globl	_ZN9rocsparseL25kernel_correction_no_normILi1024ELi4E21rocsparse_complex_numIdEiiEEvT3_T2_PKS4_S6_PKS3_PKT1_21rocsparse_index_base_S6_S6_S8_PS9_SC_S6_S6_S8_SD_SC_SD_ ; -- Begin function _ZN9rocsparseL25kernel_correction_no_normILi1024ELi4E21rocsparse_complex_numIdEiiEEvT3_T2_PKS4_S6_PKS3_PKT1_21rocsparse_index_base_S6_S6_S8_PS9_SC_S6_S6_S8_SD_SC_SD_
	.p2align	8
	.type	_ZN9rocsparseL25kernel_correction_no_normILi1024ELi4E21rocsparse_complex_numIdEiiEEvT3_T2_PKS4_S6_PKS3_PKT1_21rocsparse_index_base_S6_S6_S8_PS9_SC_S6_S6_S8_SD_SC_SD_,@function
_ZN9rocsparseL25kernel_correction_no_normILi1024ELi4E21rocsparse_complex_numIdEiiEEvT3_T2_PKS4_S6_PKS3_PKT1_21rocsparse_index_base_S6_S6_S8_PS9_SC_S6_S6_S8_SD_SC_SD_: ; @_ZN9rocsparseL25kernel_correction_no_normILi1024ELi4E21rocsparse_complex_numIdEiiEEvT3_T2_PKS4_S6_PKS3_PKT1_21rocsparse_index_base_S6_S6_S8_PS9_SC_S6_S6_S8_SD_SC_SD_
; %bb.0:
	s_load_dword s7, s[4:5], 0x0
	v_lshrrev_b32_e32 v1, 2, v0
	s_lshl_b32 s6, s6, 10
	s_mov_b32 s0, exec_lo
	v_or_b32_e32 v1, s6, v1
	s_waitcnt lgkmcnt(0)
	v_cmpx_gt_i32_e64 s7, v1
	s_cbranch_execz .LBB44_51
; %bb.1:
	s_addk_i32 s6, 0x400
	v_cmp_gt_u32_e32 vcc_lo, s6, v1
	s_and_b32 exec_lo, exec_lo, vcc_lo
	s_cbranch_execz .LBB44_51
; %bb.2:
	s_clause 0x6
	s_load_dword s33, s[4:5], 0x28
	s_load_dwordx8 s[8:15], s[4:5], 0x58
	s_load_dwordx8 s[16:23], s[4:5], 0x30
	;; [unrolled: 1-line block ×3, first 2 shown]
	s_load_dword s34, s[4:5], 0x50
	s_load_dwordx2 s[2:3], s[4:5], 0x80
	s_load_dword s4, s[4:5], 0x78
	v_and_b32_e32 v0, 3, v0
	v_mov_b32_e32 v3, 0
	s_mov_b32 s5, 0
	s_waitcnt lgkmcnt(0)
	v_subrev_nc_u32_e32 v0, s33, v0
	s_branch .LBB44_4
.LBB44_3:                               ;   in Loop: Header=BB44_4 Depth=1
	s_or_b32 exec_lo, exec_lo, s35
	v_add_nc_u32_e32 v1, 0x100, v1
	v_cmp_le_u32_e32 vcc_lo, s6, v1
	s_or_b32 s5, vcc_lo, s5
	s_andn2_b32 exec_lo, exec_lo, s5
	s_cbranch_execz .LBB44_51
.LBB44_4:                               ; =>This Loop Header: Depth=1
                                        ;     Child Loop BB44_8 Depth 2
                                        ;       Child Loop BB44_12 Depth 3
                                        ;       Child Loop BB44_34 Depth 3
	;; [unrolled: 1-line block ×3, first 2 shown]
	s_mov_b32 s35, exec_lo
	v_cmpx_gt_i32_e64 s7, v1
	s_cbranch_execz .LBB44_3
; %bb.5:                                ;   in Loop: Header=BB44_4 Depth=1
	v_ashrrev_i32_e32 v2, 31, v1
	v_lshlrev_b64 v[5:6], 2, v[1:2]
	v_add_co_u32 v7, vcc_lo, s24, v5
	v_add_co_ci_u32_e64 v8, null, s25, v6, vcc_lo
	v_add_co_u32 v9, vcc_lo, s26, v5
	v_add_co_ci_u32_e64 v10, null, s27, v6, vcc_lo
	global_load_dword v2, v[7:8], off
	global_load_dword v7, v[9:10], off
	s_waitcnt vmcnt(1)
	v_add_nc_u32_e32 v4, v0, v2
	s_waitcnt vmcnt(0)
	v_subrev_nc_u32_e32 v21, s33, v7
	v_cmp_lt_i32_e32 vcc_lo, v4, v21
	s_and_b32 exec_lo, exec_lo, vcc_lo
	s_cbranch_execz .LBB44_3
; %bb.6:                                ;   in Loop: Header=BB44_4 Depth=1
	v_add_co_u32 v7, vcc_lo, s16, v5
	v_add_co_ci_u32_e64 v8, null, s17, v6, vcc_lo
	v_add_co_u32 v5, vcc_lo, s18, v5
	v_add_co_ci_u32_e64 v6, null, s19, v6, vcc_lo
	global_load_dword v2, v[7:8], off
	s_mov_b32 s36, 0
	global_load_dword v5, v[5:6], off
	s_waitcnt vmcnt(1)
	v_subrev_nc_u32_e32 v6, s34, v2
	s_waitcnt vmcnt(0)
	v_sub_nc_u32_e32 v22, v5, v2
	v_ashrrev_i32_e32 v7, 31, v6
	v_cmp_lt_i32_e64 s0, 0, v22
	v_lshlrev_b64 v[8:9], 2, v[6:7]
	v_lshlrev_b64 v[10:11], 4, v[6:7]
	v_add_co_u32 v23, vcc_lo, s20, v8
	v_add_co_ci_u32_e64 v24, null, s21, v9, vcc_lo
	v_add_co_u32 v25, vcc_lo, s22, v10
	v_add_co_ci_u32_e64 v26, null, s23, v11, vcc_lo
	s_branch .LBB44_8
.LBB44_7:                               ;   in Loop: Header=BB44_8 Depth=2
	s_or_b32 exec_lo, exec_lo, s37
	v_add_nc_u32_e32 v4, 4, v4
	v_cmp_ge_i32_e32 vcc_lo, v4, v21
	s_or_b32 s36, vcc_lo, s36
	s_andn2_b32 exec_lo, exec_lo, s36
	s_cbranch_execz .LBB44_3
.LBB44_8:                               ;   Parent Loop BB44_4 Depth=1
                                        ; =>  This Loop Header: Depth=2
                                        ;       Child Loop BB44_12 Depth 3
                                        ;       Child Loop BB44_34 Depth 3
	;; [unrolled: 1-line block ×3, first 2 shown]
	v_ashrrev_i32_e32 v5, 31, v4
	v_mov_b32_e32 v15, 0
	v_mov_b32_e32 v16, 0
	v_lshlrev_b64 v[7:8], 2, v[4:5]
	v_add_co_u32 v7, vcc_lo, s28, v7
	v_add_co_ci_u32_e64 v8, null, s29, v8, vcc_lo
	global_load_dword v2, v[7:8], off
	s_waitcnt vmcnt(0)
	v_subrev_nc_u32_e32 v7, s33, v2
	v_mov_b32_e32 v2, 0
	v_ashrrev_i32_e32 v8, 31, v7
	v_lshlrev_b64 v[9:10], 2, v[7:8]
	v_add_co_u32 v11, vcc_lo, s8, v9
	v_add_co_ci_u32_e64 v12, null, s9, v10, vcc_lo
	v_add_co_u32 v9, vcc_lo, s10, v9
	v_add_co_ci_u32_e64 v10, null, s11, v10, vcc_lo
	global_load_dword v12, v[11:12], off
	global_load_dword v13, v[9:10], off
	v_mov_b32_e32 v9, 0
	v_mov_b32_e32 v10, 0
	s_waitcnt vmcnt(1)
	v_subrev_nc_u32_e32 v11, s4, v12
	s_waitcnt vmcnt(0)
	v_sub_nc_u32_e32 v27, v13, v12
	v_mov_b32_e32 v12, v2
	s_and_saveexec_b32 s37, s0
	s_cbranch_execz .LBB44_16
; %bb.9:                                ;   in Loop: Header=BB44_8 Depth=2
	v_ashrrev_i32_e32 v12, 31, v11
	v_mov_b32_e32 v9, 0
	v_mov_b32_e32 v10, 0
	;; [unrolled: 1-line block ×3, first 2 shown]
	s_mov_b32 s38, 0
	v_lshlrev_b64 v[14:15], 2, v[11:12]
	v_lshlrev_b64 v[12:13], 4, v[11:12]
                                        ; implicit-def: $sgpr39
	v_add_co_u32 v14, vcc_lo, s12, v14
	v_add_co_ci_u32_e64 v17, null, s13, v15, vcc_lo
	v_add_co_u32 v18, vcc_lo, s14, v12
	v_mov_b32_e32 v15, 0
	v_add_co_ci_u32_e64 v19, null, s15, v13, vcc_lo
	v_mov_b32_e32 v12, 0
	v_mov_b32_e32 v16, 0
	s_branch .LBB44_12
.LBB44_10:                              ;   in Loop: Header=BB44_12 Depth=3
	s_or_b32 exec_lo, exec_lo, s1
	v_cmp_le_i32_e32 vcc_lo, v20, v28
	v_cmp_ge_i32_e64 s1, v20, v28
	v_add_co_ci_u32_e64 v2, null, 0, v2, vcc_lo
	v_add_co_ci_u32_e64 v12, null, 0, v12, s1
	s_andn2_b32 s1, s39, exec_lo
	v_cmp_ge_i32_e32 vcc_lo, v2, v22
	s_and_b32 s39, vcc_lo, exec_lo
	s_or_b32 s39, s1, s39
.LBB44_11:                              ;   in Loop: Header=BB44_12 Depth=3
	s_or_b32 exec_lo, exec_lo, s40
	s_and_b32 s1, exec_lo, s39
	s_or_b32 s38, s1, s38
	s_andn2_b32 exec_lo, exec_lo, s38
	s_cbranch_execz .LBB44_15
.LBB44_12:                              ;   Parent Loop BB44_4 Depth=1
                                        ;     Parent Loop BB44_8 Depth=2
                                        ; =>    This Inner Loop Header: Depth=3
	s_or_b32 s39, s39, exec_lo
	s_mov_b32 s40, exec_lo
	v_cmpx_lt_i32_e64 v12, v27
	s_cbranch_execz .LBB44_11
; %bb.13:                               ;   in Loop: Header=BB44_12 Depth=3
	v_mov_b32_e32 v13, v3
	v_lshlrev_b64 v[28:29], 2, v[2:3]
	s_mov_b32 s1, exec_lo
	v_lshlrev_b64 v[30:31], 2, v[12:13]
	v_add_co_u32 v28, vcc_lo, v23, v28
	v_add_co_ci_u32_e64 v29, null, v24, v29, vcc_lo
	v_add_co_u32 v30, vcc_lo, v14, v30
	v_add_co_ci_u32_e64 v31, null, v17, v31, vcc_lo
	global_load_dword v20, v[28:29], off
	global_load_dword v28, v[30:31], off
	s_waitcnt vmcnt(1)
	v_subrev_nc_u32_e32 v20, s34, v20
	s_waitcnt vmcnt(0)
	v_subrev_nc_u32_e32 v28, s4, v28
	v_cmpx_eq_u32_e64 v20, v28
	s_cbranch_execz .LBB44_10
; %bb.14:                               ;   in Loop: Header=BB44_12 Depth=3
	v_lshlrev_b64 v[29:30], 4, v[2:3]
	v_lshlrev_b64 v[31:32], 4, v[12:13]
	v_add_co_u32 v29, vcc_lo, v25, v29
	v_add_co_ci_u32_e64 v30, null, v26, v30, vcc_lo
	v_add_co_u32 v33, vcc_lo, v18, v31
	v_add_co_ci_u32_e64 v34, null, v19, v32, vcc_lo
	global_load_dwordx4 v[29:32], v[29:30], off
	global_load_dwordx4 v[33:36], v[33:34], off
	s_waitcnt vmcnt(0)
	v_fma_f64 v[9:10], v[29:30], v[33:34], v[9:10]
	v_fma_f64 v[15:16], v[31:32], v[33:34], v[15:16]
	v_fma_f64 v[9:10], -v[31:32], v[35:36], v[9:10]
	v_fma_f64 v[15:16], v[29:30], v[35:36], v[15:16]
	s_branch .LBB44_10
.LBB44_15:                              ;   in Loop: Header=BB44_8 Depth=2
	s_or_b32 exec_lo, exec_lo, s38
.LBB44_16:                              ;   in Loop: Header=BB44_8 Depth=2
	s_or_b32 exec_lo, exec_lo, s37
	v_lshlrev_b64 v[13:14], 4, v[4:5]
	v_cmp_le_i32_e64 s1, v1, v7
	s_mov_b32 s37, exec_lo
	v_add_co_u32 v13, vcc_lo, s30, v13
	v_add_co_ci_u32_e64 v14, null, s31, v14, vcc_lo
	global_load_dwordx4 v[17:20], v[13:14], off
	s_waitcnt vmcnt(0)
	v_add_f64 v[13:14], v[17:18], -v[9:10]
	v_add_f64 v[9:10], v[19:20], -v[15:16]
	v_cmpx_gt_i32_e64 v1, v7
	s_cbranch_execz .LBB44_18
; %bb.17:                               ;   in Loop: Header=BB44_8 Depth=2
	v_lshlrev_b64 v[15:16], 4, v[7:8]
	v_add_co_u32 v15, vcc_lo, s2, v15
	v_add_co_ci_u32_e64 v16, null, s3, v16, vcc_lo
	global_load_dwordx4 v[15:18], v[15:16], off
	s_waitcnt vmcnt(0)
	v_mul_f64 v[19:20], v[17:18], v[17:18]
	v_fma_f64 v[19:20], v[15:16], v[15:16], v[19:20]
	v_div_scale_f64 v[28:29], null, v[19:20], v[19:20], 1.0
	v_div_scale_f64 v[34:35], vcc_lo, 1.0, v[19:20], 1.0
	v_rcp_f64_e32 v[30:31], v[28:29]
	v_fma_f64 v[32:33], -v[28:29], v[30:31], 1.0
	v_fma_f64 v[30:31], v[30:31], v[32:33], v[30:31]
	v_fma_f64 v[32:33], -v[28:29], v[30:31], 1.0
	v_fma_f64 v[30:31], v[30:31], v[32:33], v[30:31]
	v_mul_f64 v[32:33], v[34:35], v[30:31]
	v_fma_f64 v[28:29], -v[28:29], v[32:33], v[34:35]
	v_div_fmas_f64 v[28:29], v[28:29], v[30:31], v[32:33]
	v_mul_f64 v[30:31], v[9:10], v[17:18]
	v_mul_f64 v[17:18], v[17:18], -v[13:14]
	v_div_fixup_f64 v[19:20], v[28:29], v[19:20], 1.0
	v_fma_f64 v[13:14], v[13:14], v[15:16], v[30:31]
	v_fma_f64 v[9:10], v[9:10], v[15:16], v[17:18]
	v_mul_f64 v[13:14], v[13:14], v[19:20]
	v_mul_f64 v[9:10], v[9:10], v[19:20]
.LBB44_18:                              ;   in Loop: Header=BB44_8 Depth=2
	s_or_b32 exec_lo, exec_lo, s37
	v_cmp_gt_f64_e32 vcc_lo, 0, v[13:14]
	v_xor_b32_e32 v5, 0x80000000, v14
	v_xor_b32_e32 v17, 0x80000000, v10
	v_mov_b32_e32 v15, v13
	s_mov_b32 s37, exec_lo
                                        ; implicit-def: $vgpr19_vgpr20
	v_cndmask_b32_e32 v16, v14, v5, vcc_lo
	v_cmp_gt_f64_e32 vcc_lo, 0, v[9:10]
	v_cndmask_b32_e32 v18, v10, v17, vcc_lo
	v_mov_b32_e32 v17, v9
	v_cmpx_ngt_f64_e32 v[15:16], v[17:18]
	s_xor_b32 s37, exec_lo, s37
	s_cbranch_execnz .LBB44_21
; %bb.19:                               ;   in Loop: Header=BB44_8 Depth=2
	s_andn2_saveexec_b32 s37, s37
	s_cbranch_execnz .LBB44_24
.LBB44_20:                              ;   in Loop: Header=BB44_8 Depth=2
	s_or_b32 exec_lo, exec_lo, s37
	v_cmp_class_f64_e64 s38, v[19:20], 0x1f8
	s_and_saveexec_b32 s37, s38
	s_cbranch_execz .LBB44_7
	s_branch .LBB44_25
.LBB44_21:                              ;   in Loop: Header=BB44_8 Depth=2
	v_mov_b32_e32 v19, 0
	v_mov_b32_e32 v20, 0
	s_mov_b32 s38, exec_lo
	v_cmpx_neq_f64_e32 0, v[9:10]
	s_cbranch_execz .LBB44_23
; %bb.22:                               ;   in Loop: Header=BB44_8 Depth=2
	v_div_scale_f64 v[19:20], null, v[17:18], v[17:18], v[15:16]
	v_div_scale_f64 v[32:33], vcc_lo, v[15:16], v[17:18], v[15:16]
	v_rcp_f64_e32 v[28:29], v[19:20]
	v_fma_f64 v[30:31], -v[19:20], v[28:29], 1.0
	v_fma_f64 v[28:29], v[28:29], v[30:31], v[28:29]
	v_fma_f64 v[30:31], -v[19:20], v[28:29], 1.0
	v_fma_f64 v[28:29], v[28:29], v[30:31], v[28:29]
	v_mul_f64 v[30:31], v[32:33], v[28:29]
	v_fma_f64 v[19:20], -v[19:20], v[30:31], v[32:33]
	v_div_fmas_f64 v[19:20], v[19:20], v[28:29], v[30:31]
	v_div_fixup_f64 v[15:16], v[19:20], v[17:18], v[15:16]
	v_fma_f64 v[15:16], v[15:16], v[15:16], 1.0
	v_cmp_gt_f64_e32 vcc_lo, 0x10000000, v[15:16]
	v_cndmask_b32_e64 v5, 0, 0x100, vcc_lo
	v_ldexp_f64 v[15:16], v[15:16], v5
	v_cndmask_b32_e64 v5, 0, 0xffffff80, vcc_lo
	v_rsq_f64_e32 v[19:20], v[15:16]
	v_cmp_class_f64_e64 vcc_lo, v[15:16], 0x260
	v_mul_f64 v[28:29], v[15:16], v[19:20]
	v_mul_f64 v[19:20], v[19:20], 0.5
	v_fma_f64 v[30:31], -v[19:20], v[28:29], 0.5
	v_fma_f64 v[28:29], v[28:29], v[30:31], v[28:29]
	v_fma_f64 v[19:20], v[19:20], v[30:31], v[19:20]
	v_fma_f64 v[30:31], -v[28:29], v[28:29], v[15:16]
	v_fma_f64 v[28:29], v[30:31], v[19:20], v[28:29]
	v_fma_f64 v[30:31], -v[28:29], v[28:29], v[15:16]
	v_fma_f64 v[19:20], v[30:31], v[19:20], v[28:29]
	v_ldexp_f64 v[19:20], v[19:20], v5
	v_cndmask_b32_e32 v16, v20, v16, vcc_lo
	v_cndmask_b32_e32 v15, v19, v15, vcc_lo
	v_mul_f64 v[19:20], v[17:18], v[15:16]
.LBB44_23:                              ;   in Loop: Header=BB44_8 Depth=2
	s_or_b32 exec_lo, exec_lo, s38
                                        ; implicit-def: $vgpr15_vgpr16
                                        ; implicit-def: $vgpr17_vgpr18
	s_andn2_saveexec_b32 s37, s37
	s_cbranch_execz .LBB44_20
.LBB44_24:                              ;   in Loop: Header=BB44_8 Depth=2
	v_div_scale_f64 v[19:20], null, v[15:16], v[15:16], v[17:18]
	v_div_scale_f64 v[32:33], vcc_lo, v[17:18], v[15:16], v[17:18]
	v_rcp_f64_e32 v[28:29], v[19:20]
	v_fma_f64 v[30:31], -v[19:20], v[28:29], 1.0
	v_fma_f64 v[28:29], v[28:29], v[30:31], v[28:29]
	v_fma_f64 v[30:31], -v[19:20], v[28:29], 1.0
	v_fma_f64 v[28:29], v[28:29], v[30:31], v[28:29]
	v_mul_f64 v[30:31], v[32:33], v[28:29]
	v_fma_f64 v[19:20], -v[19:20], v[30:31], v[32:33]
	v_div_fmas_f64 v[19:20], v[19:20], v[28:29], v[30:31]
	v_div_fixup_f64 v[17:18], v[19:20], v[15:16], v[17:18]
	v_fma_f64 v[17:18], v[17:18], v[17:18], 1.0
	v_cmp_gt_f64_e32 vcc_lo, 0x10000000, v[17:18]
	v_cndmask_b32_e64 v5, 0, 0x100, vcc_lo
	v_ldexp_f64 v[17:18], v[17:18], v5
	v_cndmask_b32_e64 v5, 0, 0xffffff80, vcc_lo
	v_rsq_f64_e32 v[19:20], v[17:18]
	v_cmp_class_f64_e64 vcc_lo, v[17:18], 0x260
	v_mul_f64 v[28:29], v[17:18], v[19:20]
	v_mul_f64 v[19:20], v[19:20], 0.5
	v_fma_f64 v[30:31], -v[19:20], v[28:29], 0.5
	v_fma_f64 v[28:29], v[28:29], v[30:31], v[28:29]
	v_fma_f64 v[19:20], v[19:20], v[30:31], v[19:20]
	v_fma_f64 v[30:31], -v[28:29], v[28:29], v[17:18]
	v_fma_f64 v[28:29], v[30:31], v[19:20], v[28:29]
	v_fma_f64 v[30:31], -v[28:29], v[28:29], v[17:18]
	v_fma_f64 v[19:20], v[30:31], v[19:20], v[28:29]
	v_ldexp_f64 v[19:20], v[19:20], v5
	v_cndmask_b32_e32 v18, v20, v18, vcc_lo
	v_cndmask_b32_e32 v17, v19, v17, vcc_lo
	v_mul_f64 v[19:20], v[15:16], v[17:18]
	s_or_b32 exec_lo, exec_lo, s37
	v_cmp_class_f64_e64 s38, v[19:20], 0x1f8
	s_and_saveexec_b32 s37, s38
	s_cbranch_execz .LBB44_7
.LBB44_25:                              ;   in Loop: Header=BB44_8 Depth=2
	s_mov_b32 s38, 0
                                        ; implicit-def: $vgpr15_vgpr16
	s_and_saveexec_b32 s39, s1
	s_xor_b32 s1, exec_lo, s39
	s_cbranch_execnz .LBB44_28
; %bb.26:                               ;   in Loop: Header=BB44_8 Depth=2
	s_andn2_saveexec_b32 s1, s1
	s_cbranch_execnz .LBB44_41
.LBB44_27:                              ;   in Loop: Header=BB44_8 Depth=2
	s_or_b32 exec_lo, exec_lo, s1
	s_and_b32 exec_lo, exec_lo, s38
	s_cbranch_execz .LBB44_7
	s_branch .LBB44_50
.LBB44_28:                              ;   in Loop: Header=BB44_8 Depth=2
	s_mov_b32 s39, exec_lo
                                        ; implicit-def: $vgpr15_vgpr16
	v_cmpx_ge_i32_e64 v1, v7
	s_xor_b32 s39, exec_lo, s39
	s_cbranch_execz .LBB44_30
; %bb.29:                               ;   in Loop: Header=BB44_8 Depth=2
	v_lshlrev_b64 v[7:8], 4, v[7:8]
	s_mov_b32 s38, exec_lo
                                        ; implicit-def: $vgpr12
                                        ; implicit-def: $vgpr27
                                        ; implicit-def: $vgpr11
	v_add_co_u32 v15, vcc_lo, s2, v7
	v_add_co_ci_u32_e64 v16, null, s3, v8, vcc_lo
	global_store_dwordx2 v[15:16], v[13:14], off
                                        ; implicit-def: $vgpr13_vgpr14
.LBB44_30:                              ;   in Loop: Header=BB44_8 Depth=2
	s_andn2_saveexec_b32 s39, s39
	s_cbranch_execz .LBB44_40
; %bb.31:                               ;   in Loop: Header=BB44_8 Depth=2
	s_mov_b32 s41, s38
	s_mov_b32 s40, exec_lo
                                        ; implicit-def: $vgpr15_vgpr16
	v_cmpx_lt_i32_e64 v12, v27
	s_cbranch_execz .LBB44_39
; %bb.32:                               ;   in Loop: Header=BB44_8 Depth=2
	s_mov_b32 s42, 0
                                        ; implicit-def: $sgpr41
                                        ; implicit-def: $sgpr44
                                        ; implicit-def: $sgpr43
	s_inst_prefetch 0x1
	s_branch .LBB44_34
	.p2align	6
.LBB44_33:                              ;   in Loop: Header=BB44_34 Depth=3
	s_or_b32 exec_lo, exec_lo, s45
	s_and_b32 s45, exec_lo, s44
	s_or_b32 s42, s45, s42
	s_andn2_b32 s41, s41, exec_lo
	s_and_b32 s45, s43, exec_lo
	s_or_b32 s41, s41, s45
	s_andn2_b32 exec_lo, exec_lo, s42
	s_cbranch_execz .LBB44_36
.LBB44_34:                              ;   Parent Loop BB44_4 Depth=1
                                        ;     Parent Loop BB44_8 Depth=2
                                        ; =>    This Inner Loop Header: Depth=3
	v_add_nc_u32_e32 v7, v11, v12
	s_or_b32 s43, s43, exec_lo
	s_or_b32 s44, s44, exec_lo
	s_mov_b32 s45, exec_lo
	v_ashrrev_i32_e32 v8, 31, v7
	v_lshlrev_b64 v[15:16], 2, v[7:8]
	v_add_co_u32 v15, vcc_lo, s12, v15
	v_add_co_ci_u32_e64 v16, null, s13, v16, vcc_lo
	global_load_dword v2, v[15:16], off
	s_waitcnt vmcnt(0)
	v_subrev_nc_u32_e32 v2, s4, v2
	v_cmpx_ne_u32_e64 v2, v1
	s_cbranch_execz .LBB44_33
; %bb.35:                               ;   in Loop: Header=BB44_34 Depth=3
	v_add_nc_u32_e32 v12, 1, v12
	s_andn2_b32 s44, s44, exec_lo
	s_andn2_b32 s43, s43, exec_lo
	v_cmp_ge_i32_e32 vcc_lo, v12, v27
	s_and_b32 s46, vcc_lo, exec_lo
	s_or_b32 s44, s44, s46
	s_branch .LBB44_33
.LBB44_36:                              ;   in Loop: Header=BB44_8 Depth=2
	s_inst_prefetch 0x2
	s_or_b32 exec_lo, exec_lo, s42
	s_mov_b32 s42, s38
                                        ; implicit-def: $vgpr15_vgpr16
	s_and_saveexec_b32 s43, s41
	s_xor_b32 s41, exec_lo, s43
	s_cbranch_execz .LBB44_38
; %bb.37:                               ;   in Loop: Header=BB44_8 Depth=2
	v_lshlrev_b64 v[7:8], 4, v[7:8]
	s_or_b32 s42, s38, exec_lo
	v_add_co_u32 v15, vcc_lo, s14, v7
	v_add_co_ci_u32_e64 v16, null, s15, v8, vcc_lo
	global_store_dwordx2 v[15:16], v[13:14], off
.LBB44_38:                              ;   in Loop: Header=BB44_8 Depth=2
	s_or_b32 exec_lo, exec_lo, s41
	s_andn2_b32 s41, s38, exec_lo
	s_and_b32 s42, s42, exec_lo
	s_or_b32 s41, s41, s42
.LBB44_39:                              ;   in Loop: Header=BB44_8 Depth=2
	s_or_b32 exec_lo, exec_lo, s40
	s_andn2_b32 s38, s38, exec_lo
	s_and_b32 s40, s41, exec_lo
	s_or_b32 s38, s38, s40
.LBB44_40:                              ;   in Loop: Header=BB44_8 Depth=2
	s_or_b32 exec_lo, exec_lo, s39
	s_and_b32 s38, s38, exec_lo
                                        ; implicit-def: $vgpr13_vgpr14
                                        ; implicit-def: $vgpr7_vgpr8
	s_andn2_saveexec_b32 s1, s1
	s_cbranch_execz .LBB44_27
.LBB44_41:                              ;   in Loop: Header=BB44_8 Depth=2
	s_mov_b32 s40, s38
	s_mov_b32 s39, exec_lo
                                        ; implicit-def: $vgpr15_vgpr16
	v_cmpx_lt_i32_e64 v2, v22
	s_cbranch_execz .LBB44_49
; %bb.42:                               ;   in Loop: Header=BB44_8 Depth=2
	s_mov_b32 s41, 0
                                        ; implicit-def: $sgpr40
                                        ; implicit-def: $sgpr43
                                        ; implicit-def: $sgpr42
	s_inst_prefetch 0x1
	s_branch .LBB44_44
	.p2align	6
.LBB44_43:                              ;   in Loop: Header=BB44_44 Depth=3
	s_or_b32 exec_lo, exec_lo, s44
	s_and_b32 s44, exec_lo, s43
	s_or_b32 s41, s44, s41
	s_andn2_b32 s40, s40, exec_lo
	s_and_b32 s44, s42, exec_lo
	s_or_b32 s40, s40, s44
	s_andn2_b32 exec_lo, exec_lo, s41
	s_cbranch_execz .LBB44_46
.LBB44_44:                              ;   Parent Loop BB44_4 Depth=1
                                        ;     Parent Loop BB44_8 Depth=2
                                        ; =>    This Inner Loop Header: Depth=3
	v_add_nc_u32_e32 v11, v6, v2
	s_or_b32 s42, s42, exec_lo
	s_or_b32 s43, s43, exec_lo
	s_mov_b32 s44, exec_lo
	v_ashrrev_i32_e32 v12, 31, v11
	v_lshlrev_b64 v[15:16], 2, v[11:12]
	v_add_co_u32 v15, vcc_lo, s20, v15
	v_add_co_ci_u32_e64 v16, null, s21, v16, vcc_lo
	global_load_dword v5, v[15:16], off
	s_waitcnt vmcnt(0)
	v_subrev_nc_u32_e32 v5, s34, v5
	v_cmpx_ne_u32_e64 v5, v7
	s_cbranch_execz .LBB44_43
; %bb.45:                               ;   in Loop: Header=BB44_44 Depth=3
	v_add_nc_u32_e32 v2, 1, v2
	s_andn2_b32 s43, s43, exec_lo
	s_andn2_b32 s42, s42, exec_lo
	v_cmp_ge_i32_e32 vcc_lo, v2, v22
	s_and_b32 s45, vcc_lo, exec_lo
	s_or_b32 s43, s43, s45
	s_branch .LBB44_43
.LBB44_46:                              ;   in Loop: Header=BB44_8 Depth=2
	s_inst_prefetch 0x2
	s_or_b32 exec_lo, exec_lo, s41
	s_mov_b32 s41, s38
                                        ; implicit-def: $vgpr15_vgpr16
	s_and_saveexec_b32 s42, s40
	s_xor_b32 s40, exec_lo, s42
	s_cbranch_execz .LBB44_48
; %bb.47:                               ;   in Loop: Header=BB44_8 Depth=2
	v_lshlrev_b64 v[7:8], 4, v[11:12]
	s_or_b32 s41, s38, exec_lo
	v_add_co_u32 v15, vcc_lo, s22, v7
	v_add_co_ci_u32_e64 v16, null, s23, v8, vcc_lo
	global_store_dwordx2 v[15:16], v[13:14], off
.LBB44_48:                              ;   in Loop: Header=BB44_8 Depth=2
	s_or_b32 exec_lo, exec_lo, s40
	s_andn2_b32 s40, s38, exec_lo
	s_and_b32 s41, s41, exec_lo
	s_or_b32 s40, s40, s41
.LBB44_49:                              ;   in Loop: Header=BB44_8 Depth=2
	s_or_b32 exec_lo, exec_lo, s39
	s_andn2_b32 s38, s38, exec_lo
	s_and_b32 s39, s40, exec_lo
	s_or_b32 s38, s38, s39
	s_or_b32 exec_lo, exec_lo, s1
	s_and_b32 exec_lo, exec_lo, s38
	s_cbranch_execz .LBB44_7
.LBB44_50:                              ;   in Loop: Header=BB44_8 Depth=2
	global_store_dwordx2 v[15:16], v[9:10], off offset:8
	s_branch .LBB44_7
.LBB44_51:
	s_endpgm
	.section	.rodata,"a",@progbits
	.p2align	6, 0x0
	.amdhsa_kernel _ZN9rocsparseL25kernel_correction_no_normILi1024ELi4E21rocsparse_complex_numIdEiiEEvT3_T2_PKS4_S6_PKS3_PKT1_21rocsparse_index_base_S6_S6_S8_PS9_SC_S6_S6_S8_SD_SC_SD_
		.amdhsa_group_segment_fixed_size 0
		.amdhsa_private_segment_fixed_size 0
		.amdhsa_kernarg_size 136
		.amdhsa_user_sgpr_count 6
		.amdhsa_user_sgpr_private_segment_buffer 1
		.amdhsa_user_sgpr_dispatch_ptr 0
		.amdhsa_user_sgpr_queue_ptr 0
		.amdhsa_user_sgpr_kernarg_segment_ptr 1
		.amdhsa_user_sgpr_dispatch_id 0
		.amdhsa_user_sgpr_flat_scratch_init 0
		.amdhsa_user_sgpr_private_segment_size 0
		.amdhsa_wavefront_size32 1
		.amdhsa_uses_dynamic_stack 0
		.amdhsa_system_sgpr_private_segment_wavefront_offset 0
		.amdhsa_system_sgpr_workgroup_id_x 1
		.amdhsa_system_sgpr_workgroup_id_y 0
		.amdhsa_system_sgpr_workgroup_id_z 0
		.amdhsa_system_sgpr_workgroup_info 0
		.amdhsa_system_vgpr_workitem_id 0
		.amdhsa_next_free_vgpr 37
		.amdhsa_next_free_sgpr 47
		.amdhsa_reserve_vcc 1
		.amdhsa_reserve_flat_scratch 0
		.amdhsa_float_round_mode_32 0
		.amdhsa_float_round_mode_16_64 0
		.amdhsa_float_denorm_mode_32 3
		.amdhsa_float_denorm_mode_16_64 3
		.amdhsa_dx10_clamp 1
		.amdhsa_ieee_mode 1
		.amdhsa_fp16_overflow 0
		.amdhsa_workgroup_processor_mode 1
		.amdhsa_memory_ordered 1
		.amdhsa_forward_progress 1
		.amdhsa_shared_vgpr_count 0
		.amdhsa_exception_fp_ieee_invalid_op 0
		.amdhsa_exception_fp_denorm_src 0
		.amdhsa_exception_fp_ieee_div_zero 0
		.amdhsa_exception_fp_ieee_overflow 0
		.amdhsa_exception_fp_ieee_underflow 0
		.amdhsa_exception_fp_ieee_inexact 0
		.amdhsa_exception_int_div_zero 0
	.end_amdhsa_kernel
	.section	.text._ZN9rocsparseL25kernel_correction_no_normILi1024ELi4E21rocsparse_complex_numIdEiiEEvT3_T2_PKS4_S6_PKS3_PKT1_21rocsparse_index_base_S6_S6_S8_PS9_SC_S6_S6_S8_SD_SC_SD_,"axG",@progbits,_ZN9rocsparseL25kernel_correction_no_normILi1024ELi4E21rocsparse_complex_numIdEiiEEvT3_T2_PKS4_S6_PKS3_PKT1_21rocsparse_index_base_S6_S6_S8_PS9_SC_S6_S6_S8_SD_SC_SD_,comdat
.Lfunc_end44:
	.size	_ZN9rocsparseL25kernel_correction_no_normILi1024ELi4E21rocsparse_complex_numIdEiiEEvT3_T2_PKS4_S6_PKS3_PKT1_21rocsparse_index_base_S6_S6_S8_PS9_SC_S6_S6_S8_SD_SC_SD_, .Lfunc_end44-_ZN9rocsparseL25kernel_correction_no_normILi1024ELi4E21rocsparse_complex_numIdEiiEEvT3_T2_PKS4_S6_PKS3_PKT1_21rocsparse_index_base_S6_S6_S8_PS9_SC_S6_S6_S8_SD_SC_SD_
                                        ; -- End function
	.set _ZN9rocsparseL25kernel_correction_no_normILi1024ELi4E21rocsparse_complex_numIdEiiEEvT3_T2_PKS4_S6_PKS3_PKT1_21rocsparse_index_base_S6_S6_S8_PS9_SC_S6_S6_S8_SD_SC_SD_.num_vgpr, 37
	.set _ZN9rocsparseL25kernel_correction_no_normILi1024ELi4E21rocsparse_complex_numIdEiiEEvT3_T2_PKS4_S6_PKS3_PKT1_21rocsparse_index_base_S6_S6_S8_PS9_SC_S6_S6_S8_SD_SC_SD_.num_agpr, 0
	.set _ZN9rocsparseL25kernel_correction_no_normILi1024ELi4E21rocsparse_complex_numIdEiiEEvT3_T2_PKS4_S6_PKS3_PKT1_21rocsparse_index_base_S6_S6_S8_PS9_SC_S6_S6_S8_SD_SC_SD_.numbered_sgpr, 47
	.set _ZN9rocsparseL25kernel_correction_no_normILi1024ELi4E21rocsparse_complex_numIdEiiEEvT3_T2_PKS4_S6_PKS3_PKT1_21rocsparse_index_base_S6_S6_S8_PS9_SC_S6_S6_S8_SD_SC_SD_.num_named_barrier, 0
	.set _ZN9rocsparseL25kernel_correction_no_normILi1024ELi4E21rocsparse_complex_numIdEiiEEvT3_T2_PKS4_S6_PKS3_PKT1_21rocsparse_index_base_S6_S6_S8_PS9_SC_S6_S6_S8_SD_SC_SD_.private_seg_size, 0
	.set _ZN9rocsparseL25kernel_correction_no_normILi1024ELi4E21rocsparse_complex_numIdEiiEEvT3_T2_PKS4_S6_PKS3_PKT1_21rocsparse_index_base_S6_S6_S8_PS9_SC_S6_S6_S8_SD_SC_SD_.uses_vcc, 1
	.set _ZN9rocsparseL25kernel_correction_no_normILi1024ELi4E21rocsparse_complex_numIdEiiEEvT3_T2_PKS4_S6_PKS3_PKT1_21rocsparse_index_base_S6_S6_S8_PS9_SC_S6_S6_S8_SD_SC_SD_.uses_flat_scratch, 0
	.set _ZN9rocsparseL25kernel_correction_no_normILi1024ELi4E21rocsparse_complex_numIdEiiEEvT3_T2_PKS4_S6_PKS3_PKT1_21rocsparse_index_base_S6_S6_S8_PS9_SC_S6_S6_S8_SD_SC_SD_.has_dyn_sized_stack, 0
	.set _ZN9rocsparseL25kernel_correction_no_normILi1024ELi4E21rocsparse_complex_numIdEiiEEvT3_T2_PKS4_S6_PKS3_PKT1_21rocsparse_index_base_S6_S6_S8_PS9_SC_S6_S6_S8_SD_SC_SD_.has_recursion, 0
	.set _ZN9rocsparseL25kernel_correction_no_normILi1024ELi4E21rocsparse_complex_numIdEiiEEvT3_T2_PKS4_S6_PKS3_PKT1_21rocsparse_index_base_S6_S6_S8_PS9_SC_S6_S6_S8_SD_SC_SD_.has_indirect_call, 0
	.section	.AMDGPU.csdata,"",@progbits
; Kernel info:
; codeLenInByte = 2620
; TotalNumSgprs: 49
; NumVgprs: 37
; ScratchSize: 0
; MemoryBound: 1
; FloatMode: 240
; IeeeMode: 1
; LDSByteSize: 0 bytes/workgroup (compile time only)
; SGPRBlocks: 0
; VGPRBlocks: 4
; NumSGPRsForWavesPerEU: 49
; NumVGPRsForWavesPerEU: 37
; Occupancy: 16
; WaveLimiterHint : 1
; COMPUTE_PGM_RSRC2:SCRATCH_EN: 0
; COMPUTE_PGM_RSRC2:USER_SGPR: 6
; COMPUTE_PGM_RSRC2:TRAP_HANDLER: 0
; COMPUTE_PGM_RSRC2:TGID_X_EN: 1
; COMPUTE_PGM_RSRC2:TGID_Y_EN: 0
; COMPUTE_PGM_RSRC2:TGID_Z_EN: 0
; COMPUTE_PGM_RSRC2:TIDIG_COMP_CNT: 0
	.section	.text._ZN9rocsparseL25kernel_correction_no_normILi1024ELi8E21rocsparse_complex_numIdEiiEEvT3_T2_PKS4_S6_PKS3_PKT1_21rocsparse_index_base_S6_S6_S8_PS9_SC_S6_S6_S8_SD_SC_SD_,"axG",@progbits,_ZN9rocsparseL25kernel_correction_no_normILi1024ELi8E21rocsparse_complex_numIdEiiEEvT3_T2_PKS4_S6_PKS3_PKT1_21rocsparse_index_base_S6_S6_S8_PS9_SC_S6_S6_S8_SD_SC_SD_,comdat
	.globl	_ZN9rocsparseL25kernel_correction_no_normILi1024ELi8E21rocsparse_complex_numIdEiiEEvT3_T2_PKS4_S6_PKS3_PKT1_21rocsparse_index_base_S6_S6_S8_PS9_SC_S6_S6_S8_SD_SC_SD_ ; -- Begin function _ZN9rocsparseL25kernel_correction_no_normILi1024ELi8E21rocsparse_complex_numIdEiiEEvT3_T2_PKS4_S6_PKS3_PKT1_21rocsparse_index_base_S6_S6_S8_PS9_SC_S6_S6_S8_SD_SC_SD_
	.p2align	8
	.type	_ZN9rocsparseL25kernel_correction_no_normILi1024ELi8E21rocsparse_complex_numIdEiiEEvT3_T2_PKS4_S6_PKS3_PKT1_21rocsparse_index_base_S6_S6_S8_PS9_SC_S6_S6_S8_SD_SC_SD_,@function
_ZN9rocsparseL25kernel_correction_no_normILi1024ELi8E21rocsparse_complex_numIdEiiEEvT3_T2_PKS4_S6_PKS3_PKT1_21rocsparse_index_base_S6_S6_S8_PS9_SC_S6_S6_S8_SD_SC_SD_: ; @_ZN9rocsparseL25kernel_correction_no_normILi1024ELi8E21rocsparse_complex_numIdEiiEEvT3_T2_PKS4_S6_PKS3_PKT1_21rocsparse_index_base_S6_S6_S8_PS9_SC_S6_S6_S8_SD_SC_SD_
; %bb.0:
	s_load_dword s7, s[4:5], 0x0
	v_lshrrev_b32_e32 v1, 3, v0
	s_lshl_b32 s6, s6, 10
	s_mov_b32 s0, exec_lo
	v_or_b32_e32 v1, s6, v1
	s_waitcnt lgkmcnt(0)
	v_cmpx_gt_i32_e64 s7, v1
	s_cbranch_execz .LBB45_51
; %bb.1:
	s_addk_i32 s6, 0x400
	v_cmp_gt_u32_e32 vcc_lo, s6, v1
	s_and_b32 exec_lo, exec_lo, vcc_lo
	s_cbranch_execz .LBB45_51
; %bb.2:
	s_clause 0x6
	s_load_dword s33, s[4:5], 0x28
	s_load_dwordx8 s[8:15], s[4:5], 0x58
	s_load_dwordx8 s[16:23], s[4:5], 0x30
	;; [unrolled: 1-line block ×3, first 2 shown]
	s_load_dword s34, s[4:5], 0x50
	s_load_dwordx2 s[2:3], s[4:5], 0x80
	s_load_dword s4, s[4:5], 0x78
	v_and_b32_e32 v0, 7, v0
	v_mov_b32_e32 v3, 0
	s_mov_b32 s5, 0
	s_waitcnt lgkmcnt(0)
	v_subrev_nc_u32_e32 v0, s33, v0
	s_branch .LBB45_4
.LBB45_3:                               ;   in Loop: Header=BB45_4 Depth=1
	s_or_b32 exec_lo, exec_lo, s35
	v_add_nc_u32_e32 v1, 0x80, v1
	v_cmp_le_u32_e32 vcc_lo, s6, v1
	s_or_b32 s5, vcc_lo, s5
	s_andn2_b32 exec_lo, exec_lo, s5
	s_cbranch_execz .LBB45_51
.LBB45_4:                               ; =>This Loop Header: Depth=1
                                        ;     Child Loop BB45_8 Depth 2
                                        ;       Child Loop BB45_12 Depth 3
                                        ;       Child Loop BB45_34 Depth 3
	;; [unrolled: 1-line block ×3, first 2 shown]
	s_mov_b32 s35, exec_lo
	v_cmpx_gt_i32_e64 s7, v1
	s_cbranch_execz .LBB45_3
; %bb.5:                                ;   in Loop: Header=BB45_4 Depth=1
	v_ashrrev_i32_e32 v2, 31, v1
	v_lshlrev_b64 v[5:6], 2, v[1:2]
	v_add_co_u32 v7, vcc_lo, s24, v5
	v_add_co_ci_u32_e64 v8, null, s25, v6, vcc_lo
	v_add_co_u32 v9, vcc_lo, s26, v5
	v_add_co_ci_u32_e64 v10, null, s27, v6, vcc_lo
	global_load_dword v2, v[7:8], off
	global_load_dword v7, v[9:10], off
	s_waitcnt vmcnt(1)
	v_add_nc_u32_e32 v4, v0, v2
	s_waitcnt vmcnt(0)
	v_subrev_nc_u32_e32 v21, s33, v7
	v_cmp_lt_i32_e32 vcc_lo, v4, v21
	s_and_b32 exec_lo, exec_lo, vcc_lo
	s_cbranch_execz .LBB45_3
; %bb.6:                                ;   in Loop: Header=BB45_4 Depth=1
	v_add_co_u32 v7, vcc_lo, s16, v5
	v_add_co_ci_u32_e64 v8, null, s17, v6, vcc_lo
	v_add_co_u32 v5, vcc_lo, s18, v5
	v_add_co_ci_u32_e64 v6, null, s19, v6, vcc_lo
	global_load_dword v2, v[7:8], off
	s_mov_b32 s36, 0
	global_load_dword v5, v[5:6], off
	s_waitcnt vmcnt(1)
	v_subrev_nc_u32_e32 v6, s34, v2
	s_waitcnt vmcnt(0)
	v_sub_nc_u32_e32 v22, v5, v2
	v_ashrrev_i32_e32 v7, 31, v6
	v_cmp_lt_i32_e64 s0, 0, v22
	v_lshlrev_b64 v[8:9], 2, v[6:7]
	v_lshlrev_b64 v[10:11], 4, v[6:7]
	v_add_co_u32 v23, vcc_lo, s20, v8
	v_add_co_ci_u32_e64 v24, null, s21, v9, vcc_lo
	v_add_co_u32 v25, vcc_lo, s22, v10
	v_add_co_ci_u32_e64 v26, null, s23, v11, vcc_lo
	s_branch .LBB45_8
.LBB45_7:                               ;   in Loop: Header=BB45_8 Depth=2
	s_or_b32 exec_lo, exec_lo, s37
	v_add_nc_u32_e32 v4, 8, v4
	v_cmp_ge_i32_e32 vcc_lo, v4, v21
	s_or_b32 s36, vcc_lo, s36
	s_andn2_b32 exec_lo, exec_lo, s36
	s_cbranch_execz .LBB45_3
.LBB45_8:                               ;   Parent Loop BB45_4 Depth=1
                                        ; =>  This Loop Header: Depth=2
                                        ;       Child Loop BB45_12 Depth 3
                                        ;       Child Loop BB45_34 Depth 3
	;; [unrolled: 1-line block ×3, first 2 shown]
	v_ashrrev_i32_e32 v5, 31, v4
	v_mov_b32_e32 v15, 0
	v_mov_b32_e32 v16, 0
	v_lshlrev_b64 v[7:8], 2, v[4:5]
	v_add_co_u32 v7, vcc_lo, s28, v7
	v_add_co_ci_u32_e64 v8, null, s29, v8, vcc_lo
	global_load_dword v2, v[7:8], off
	s_waitcnt vmcnt(0)
	v_subrev_nc_u32_e32 v7, s33, v2
	v_mov_b32_e32 v2, 0
	v_ashrrev_i32_e32 v8, 31, v7
	v_lshlrev_b64 v[9:10], 2, v[7:8]
	v_add_co_u32 v11, vcc_lo, s8, v9
	v_add_co_ci_u32_e64 v12, null, s9, v10, vcc_lo
	v_add_co_u32 v9, vcc_lo, s10, v9
	v_add_co_ci_u32_e64 v10, null, s11, v10, vcc_lo
	global_load_dword v12, v[11:12], off
	global_load_dword v13, v[9:10], off
	v_mov_b32_e32 v9, 0
	v_mov_b32_e32 v10, 0
	s_waitcnt vmcnt(1)
	v_subrev_nc_u32_e32 v11, s4, v12
	s_waitcnt vmcnt(0)
	v_sub_nc_u32_e32 v27, v13, v12
	v_mov_b32_e32 v12, v2
	s_and_saveexec_b32 s37, s0
	s_cbranch_execz .LBB45_16
; %bb.9:                                ;   in Loop: Header=BB45_8 Depth=2
	v_ashrrev_i32_e32 v12, 31, v11
	v_mov_b32_e32 v9, 0
	v_mov_b32_e32 v10, 0
	;; [unrolled: 1-line block ×3, first 2 shown]
	s_mov_b32 s38, 0
	v_lshlrev_b64 v[14:15], 2, v[11:12]
	v_lshlrev_b64 v[12:13], 4, v[11:12]
                                        ; implicit-def: $sgpr39
	v_add_co_u32 v14, vcc_lo, s12, v14
	v_add_co_ci_u32_e64 v17, null, s13, v15, vcc_lo
	v_add_co_u32 v18, vcc_lo, s14, v12
	v_mov_b32_e32 v15, 0
	v_add_co_ci_u32_e64 v19, null, s15, v13, vcc_lo
	v_mov_b32_e32 v12, 0
	v_mov_b32_e32 v16, 0
	s_branch .LBB45_12
.LBB45_10:                              ;   in Loop: Header=BB45_12 Depth=3
	s_or_b32 exec_lo, exec_lo, s1
	v_cmp_le_i32_e32 vcc_lo, v20, v28
	v_cmp_ge_i32_e64 s1, v20, v28
	v_add_co_ci_u32_e64 v2, null, 0, v2, vcc_lo
	v_add_co_ci_u32_e64 v12, null, 0, v12, s1
	s_andn2_b32 s1, s39, exec_lo
	v_cmp_ge_i32_e32 vcc_lo, v2, v22
	s_and_b32 s39, vcc_lo, exec_lo
	s_or_b32 s39, s1, s39
.LBB45_11:                              ;   in Loop: Header=BB45_12 Depth=3
	s_or_b32 exec_lo, exec_lo, s40
	s_and_b32 s1, exec_lo, s39
	s_or_b32 s38, s1, s38
	s_andn2_b32 exec_lo, exec_lo, s38
	s_cbranch_execz .LBB45_15
.LBB45_12:                              ;   Parent Loop BB45_4 Depth=1
                                        ;     Parent Loop BB45_8 Depth=2
                                        ; =>    This Inner Loop Header: Depth=3
	s_or_b32 s39, s39, exec_lo
	s_mov_b32 s40, exec_lo
	v_cmpx_lt_i32_e64 v12, v27
	s_cbranch_execz .LBB45_11
; %bb.13:                               ;   in Loop: Header=BB45_12 Depth=3
	v_mov_b32_e32 v13, v3
	v_lshlrev_b64 v[28:29], 2, v[2:3]
	s_mov_b32 s1, exec_lo
	v_lshlrev_b64 v[30:31], 2, v[12:13]
	v_add_co_u32 v28, vcc_lo, v23, v28
	v_add_co_ci_u32_e64 v29, null, v24, v29, vcc_lo
	v_add_co_u32 v30, vcc_lo, v14, v30
	v_add_co_ci_u32_e64 v31, null, v17, v31, vcc_lo
	global_load_dword v20, v[28:29], off
	global_load_dword v28, v[30:31], off
	s_waitcnt vmcnt(1)
	v_subrev_nc_u32_e32 v20, s34, v20
	s_waitcnt vmcnt(0)
	v_subrev_nc_u32_e32 v28, s4, v28
	v_cmpx_eq_u32_e64 v20, v28
	s_cbranch_execz .LBB45_10
; %bb.14:                               ;   in Loop: Header=BB45_12 Depth=3
	v_lshlrev_b64 v[29:30], 4, v[2:3]
	v_lshlrev_b64 v[31:32], 4, v[12:13]
	v_add_co_u32 v29, vcc_lo, v25, v29
	v_add_co_ci_u32_e64 v30, null, v26, v30, vcc_lo
	v_add_co_u32 v33, vcc_lo, v18, v31
	v_add_co_ci_u32_e64 v34, null, v19, v32, vcc_lo
	global_load_dwordx4 v[29:32], v[29:30], off
	global_load_dwordx4 v[33:36], v[33:34], off
	s_waitcnt vmcnt(0)
	v_fma_f64 v[9:10], v[29:30], v[33:34], v[9:10]
	v_fma_f64 v[15:16], v[31:32], v[33:34], v[15:16]
	v_fma_f64 v[9:10], -v[31:32], v[35:36], v[9:10]
	v_fma_f64 v[15:16], v[29:30], v[35:36], v[15:16]
	s_branch .LBB45_10
.LBB45_15:                              ;   in Loop: Header=BB45_8 Depth=2
	s_or_b32 exec_lo, exec_lo, s38
.LBB45_16:                              ;   in Loop: Header=BB45_8 Depth=2
	s_or_b32 exec_lo, exec_lo, s37
	v_lshlrev_b64 v[13:14], 4, v[4:5]
	v_cmp_le_i32_e64 s1, v1, v7
	s_mov_b32 s37, exec_lo
	v_add_co_u32 v13, vcc_lo, s30, v13
	v_add_co_ci_u32_e64 v14, null, s31, v14, vcc_lo
	global_load_dwordx4 v[17:20], v[13:14], off
	s_waitcnt vmcnt(0)
	v_add_f64 v[13:14], v[17:18], -v[9:10]
	v_add_f64 v[9:10], v[19:20], -v[15:16]
	v_cmpx_gt_i32_e64 v1, v7
	s_cbranch_execz .LBB45_18
; %bb.17:                               ;   in Loop: Header=BB45_8 Depth=2
	v_lshlrev_b64 v[15:16], 4, v[7:8]
	v_add_co_u32 v15, vcc_lo, s2, v15
	v_add_co_ci_u32_e64 v16, null, s3, v16, vcc_lo
	global_load_dwordx4 v[15:18], v[15:16], off
	s_waitcnt vmcnt(0)
	v_mul_f64 v[19:20], v[17:18], v[17:18]
	v_fma_f64 v[19:20], v[15:16], v[15:16], v[19:20]
	v_div_scale_f64 v[28:29], null, v[19:20], v[19:20], 1.0
	v_div_scale_f64 v[34:35], vcc_lo, 1.0, v[19:20], 1.0
	v_rcp_f64_e32 v[30:31], v[28:29]
	v_fma_f64 v[32:33], -v[28:29], v[30:31], 1.0
	v_fma_f64 v[30:31], v[30:31], v[32:33], v[30:31]
	v_fma_f64 v[32:33], -v[28:29], v[30:31], 1.0
	v_fma_f64 v[30:31], v[30:31], v[32:33], v[30:31]
	v_mul_f64 v[32:33], v[34:35], v[30:31]
	v_fma_f64 v[28:29], -v[28:29], v[32:33], v[34:35]
	v_div_fmas_f64 v[28:29], v[28:29], v[30:31], v[32:33]
	v_mul_f64 v[30:31], v[9:10], v[17:18]
	v_mul_f64 v[17:18], v[17:18], -v[13:14]
	v_div_fixup_f64 v[19:20], v[28:29], v[19:20], 1.0
	v_fma_f64 v[13:14], v[13:14], v[15:16], v[30:31]
	v_fma_f64 v[9:10], v[9:10], v[15:16], v[17:18]
	v_mul_f64 v[13:14], v[13:14], v[19:20]
	v_mul_f64 v[9:10], v[9:10], v[19:20]
.LBB45_18:                              ;   in Loop: Header=BB45_8 Depth=2
	s_or_b32 exec_lo, exec_lo, s37
	v_cmp_gt_f64_e32 vcc_lo, 0, v[13:14]
	v_xor_b32_e32 v5, 0x80000000, v14
	v_xor_b32_e32 v17, 0x80000000, v10
	v_mov_b32_e32 v15, v13
	s_mov_b32 s37, exec_lo
                                        ; implicit-def: $vgpr19_vgpr20
	v_cndmask_b32_e32 v16, v14, v5, vcc_lo
	v_cmp_gt_f64_e32 vcc_lo, 0, v[9:10]
	v_cndmask_b32_e32 v18, v10, v17, vcc_lo
	v_mov_b32_e32 v17, v9
	v_cmpx_ngt_f64_e32 v[15:16], v[17:18]
	s_xor_b32 s37, exec_lo, s37
	s_cbranch_execnz .LBB45_21
; %bb.19:                               ;   in Loop: Header=BB45_8 Depth=2
	s_andn2_saveexec_b32 s37, s37
	s_cbranch_execnz .LBB45_24
.LBB45_20:                              ;   in Loop: Header=BB45_8 Depth=2
	s_or_b32 exec_lo, exec_lo, s37
	v_cmp_class_f64_e64 s38, v[19:20], 0x1f8
	s_and_saveexec_b32 s37, s38
	s_cbranch_execz .LBB45_7
	s_branch .LBB45_25
.LBB45_21:                              ;   in Loop: Header=BB45_8 Depth=2
	v_mov_b32_e32 v19, 0
	v_mov_b32_e32 v20, 0
	s_mov_b32 s38, exec_lo
	v_cmpx_neq_f64_e32 0, v[9:10]
	s_cbranch_execz .LBB45_23
; %bb.22:                               ;   in Loop: Header=BB45_8 Depth=2
	v_div_scale_f64 v[19:20], null, v[17:18], v[17:18], v[15:16]
	v_div_scale_f64 v[32:33], vcc_lo, v[15:16], v[17:18], v[15:16]
	v_rcp_f64_e32 v[28:29], v[19:20]
	v_fma_f64 v[30:31], -v[19:20], v[28:29], 1.0
	v_fma_f64 v[28:29], v[28:29], v[30:31], v[28:29]
	v_fma_f64 v[30:31], -v[19:20], v[28:29], 1.0
	v_fma_f64 v[28:29], v[28:29], v[30:31], v[28:29]
	v_mul_f64 v[30:31], v[32:33], v[28:29]
	v_fma_f64 v[19:20], -v[19:20], v[30:31], v[32:33]
	v_div_fmas_f64 v[19:20], v[19:20], v[28:29], v[30:31]
	v_div_fixup_f64 v[15:16], v[19:20], v[17:18], v[15:16]
	v_fma_f64 v[15:16], v[15:16], v[15:16], 1.0
	v_cmp_gt_f64_e32 vcc_lo, 0x10000000, v[15:16]
	v_cndmask_b32_e64 v5, 0, 0x100, vcc_lo
	v_ldexp_f64 v[15:16], v[15:16], v5
	v_cndmask_b32_e64 v5, 0, 0xffffff80, vcc_lo
	v_rsq_f64_e32 v[19:20], v[15:16]
	v_cmp_class_f64_e64 vcc_lo, v[15:16], 0x260
	v_mul_f64 v[28:29], v[15:16], v[19:20]
	v_mul_f64 v[19:20], v[19:20], 0.5
	v_fma_f64 v[30:31], -v[19:20], v[28:29], 0.5
	v_fma_f64 v[28:29], v[28:29], v[30:31], v[28:29]
	v_fma_f64 v[19:20], v[19:20], v[30:31], v[19:20]
	v_fma_f64 v[30:31], -v[28:29], v[28:29], v[15:16]
	v_fma_f64 v[28:29], v[30:31], v[19:20], v[28:29]
	v_fma_f64 v[30:31], -v[28:29], v[28:29], v[15:16]
	v_fma_f64 v[19:20], v[30:31], v[19:20], v[28:29]
	v_ldexp_f64 v[19:20], v[19:20], v5
	v_cndmask_b32_e32 v16, v20, v16, vcc_lo
	v_cndmask_b32_e32 v15, v19, v15, vcc_lo
	v_mul_f64 v[19:20], v[17:18], v[15:16]
.LBB45_23:                              ;   in Loop: Header=BB45_8 Depth=2
	s_or_b32 exec_lo, exec_lo, s38
                                        ; implicit-def: $vgpr15_vgpr16
                                        ; implicit-def: $vgpr17_vgpr18
	s_andn2_saveexec_b32 s37, s37
	s_cbranch_execz .LBB45_20
.LBB45_24:                              ;   in Loop: Header=BB45_8 Depth=2
	v_div_scale_f64 v[19:20], null, v[15:16], v[15:16], v[17:18]
	v_div_scale_f64 v[32:33], vcc_lo, v[17:18], v[15:16], v[17:18]
	v_rcp_f64_e32 v[28:29], v[19:20]
	v_fma_f64 v[30:31], -v[19:20], v[28:29], 1.0
	v_fma_f64 v[28:29], v[28:29], v[30:31], v[28:29]
	v_fma_f64 v[30:31], -v[19:20], v[28:29], 1.0
	v_fma_f64 v[28:29], v[28:29], v[30:31], v[28:29]
	v_mul_f64 v[30:31], v[32:33], v[28:29]
	v_fma_f64 v[19:20], -v[19:20], v[30:31], v[32:33]
	v_div_fmas_f64 v[19:20], v[19:20], v[28:29], v[30:31]
	v_div_fixup_f64 v[17:18], v[19:20], v[15:16], v[17:18]
	v_fma_f64 v[17:18], v[17:18], v[17:18], 1.0
	v_cmp_gt_f64_e32 vcc_lo, 0x10000000, v[17:18]
	v_cndmask_b32_e64 v5, 0, 0x100, vcc_lo
	v_ldexp_f64 v[17:18], v[17:18], v5
	v_cndmask_b32_e64 v5, 0, 0xffffff80, vcc_lo
	v_rsq_f64_e32 v[19:20], v[17:18]
	v_cmp_class_f64_e64 vcc_lo, v[17:18], 0x260
	v_mul_f64 v[28:29], v[17:18], v[19:20]
	v_mul_f64 v[19:20], v[19:20], 0.5
	v_fma_f64 v[30:31], -v[19:20], v[28:29], 0.5
	v_fma_f64 v[28:29], v[28:29], v[30:31], v[28:29]
	v_fma_f64 v[19:20], v[19:20], v[30:31], v[19:20]
	v_fma_f64 v[30:31], -v[28:29], v[28:29], v[17:18]
	v_fma_f64 v[28:29], v[30:31], v[19:20], v[28:29]
	v_fma_f64 v[30:31], -v[28:29], v[28:29], v[17:18]
	v_fma_f64 v[19:20], v[30:31], v[19:20], v[28:29]
	v_ldexp_f64 v[19:20], v[19:20], v5
	v_cndmask_b32_e32 v18, v20, v18, vcc_lo
	v_cndmask_b32_e32 v17, v19, v17, vcc_lo
	v_mul_f64 v[19:20], v[15:16], v[17:18]
	s_or_b32 exec_lo, exec_lo, s37
	v_cmp_class_f64_e64 s38, v[19:20], 0x1f8
	s_and_saveexec_b32 s37, s38
	s_cbranch_execz .LBB45_7
.LBB45_25:                              ;   in Loop: Header=BB45_8 Depth=2
	s_mov_b32 s38, 0
                                        ; implicit-def: $vgpr15_vgpr16
	s_and_saveexec_b32 s39, s1
	s_xor_b32 s1, exec_lo, s39
	s_cbranch_execnz .LBB45_28
; %bb.26:                               ;   in Loop: Header=BB45_8 Depth=2
	s_andn2_saveexec_b32 s1, s1
	s_cbranch_execnz .LBB45_41
.LBB45_27:                              ;   in Loop: Header=BB45_8 Depth=2
	s_or_b32 exec_lo, exec_lo, s1
	s_and_b32 exec_lo, exec_lo, s38
	s_cbranch_execz .LBB45_7
	s_branch .LBB45_50
.LBB45_28:                              ;   in Loop: Header=BB45_8 Depth=2
	s_mov_b32 s39, exec_lo
                                        ; implicit-def: $vgpr15_vgpr16
	v_cmpx_ge_i32_e64 v1, v7
	s_xor_b32 s39, exec_lo, s39
	s_cbranch_execz .LBB45_30
; %bb.29:                               ;   in Loop: Header=BB45_8 Depth=2
	v_lshlrev_b64 v[7:8], 4, v[7:8]
	s_mov_b32 s38, exec_lo
                                        ; implicit-def: $vgpr12
                                        ; implicit-def: $vgpr27
                                        ; implicit-def: $vgpr11
	v_add_co_u32 v15, vcc_lo, s2, v7
	v_add_co_ci_u32_e64 v16, null, s3, v8, vcc_lo
	global_store_dwordx2 v[15:16], v[13:14], off
                                        ; implicit-def: $vgpr13_vgpr14
.LBB45_30:                              ;   in Loop: Header=BB45_8 Depth=2
	s_andn2_saveexec_b32 s39, s39
	s_cbranch_execz .LBB45_40
; %bb.31:                               ;   in Loop: Header=BB45_8 Depth=2
	s_mov_b32 s41, s38
	s_mov_b32 s40, exec_lo
                                        ; implicit-def: $vgpr15_vgpr16
	v_cmpx_lt_i32_e64 v12, v27
	s_cbranch_execz .LBB45_39
; %bb.32:                               ;   in Loop: Header=BB45_8 Depth=2
	s_mov_b32 s42, 0
                                        ; implicit-def: $sgpr41
                                        ; implicit-def: $sgpr44
                                        ; implicit-def: $sgpr43
	s_inst_prefetch 0x1
	s_branch .LBB45_34
	.p2align	6
.LBB45_33:                              ;   in Loop: Header=BB45_34 Depth=3
	s_or_b32 exec_lo, exec_lo, s45
	s_and_b32 s45, exec_lo, s44
	s_or_b32 s42, s45, s42
	s_andn2_b32 s41, s41, exec_lo
	s_and_b32 s45, s43, exec_lo
	s_or_b32 s41, s41, s45
	s_andn2_b32 exec_lo, exec_lo, s42
	s_cbranch_execz .LBB45_36
.LBB45_34:                              ;   Parent Loop BB45_4 Depth=1
                                        ;     Parent Loop BB45_8 Depth=2
                                        ; =>    This Inner Loop Header: Depth=3
	v_add_nc_u32_e32 v7, v11, v12
	s_or_b32 s43, s43, exec_lo
	s_or_b32 s44, s44, exec_lo
	s_mov_b32 s45, exec_lo
	v_ashrrev_i32_e32 v8, 31, v7
	v_lshlrev_b64 v[15:16], 2, v[7:8]
	v_add_co_u32 v15, vcc_lo, s12, v15
	v_add_co_ci_u32_e64 v16, null, s13, v16, vcc_lo
	global_load_dword v2, v[15:16], off
	s_waitcnt vmcnt(0)
	v_subrev_nc_u32_e32 v2, s4, v2
	v_cmpx_ne_u32_e64 v2, v1
	s_cbranch_execz .LBB45_33
; %bb.35:                               ;   in Loop: Header=BB45_34 Depth=3
	v_add_nc_u32_e32 v12, 1, v12
	s_andn2_b32 s44, s44, exec_lo
	s_andn2_b32 s43, s43, exec_lo
	v_cmp_ge_i32_e32 vcc_lo, v12, v27
	s_and_b32 s46, vcc_lo, exec_lo
	s_or_b32 s44, s44, s46
	s_branch .LBB45_33
.LBB45_36:                              ;   in Loop: Header=BB45_8 Depth=2
	s_inst_prefetch 0x2
	s_or_b32 exec_lo, exec_lo, s42
	s_mov_b32 s42, s38
                                        ; implicit-def: $vgpr15_vgpr16
	s_and_saveexec_b32 s43, s41
	s_xor_b32 s41, exec_lo, s43
	s_cbranch_execz .LBB45_38
; %bb.37:                               ;   in Loop: Header=BB45_8 Depth=2
	v_lshlrev_b64 v[7:8], 4, v[7:8]
	s_or_b32 s42, s38, exec_lo
	v_add_co_u32 v15, vcc_lo, s14, v7
	v_add_co_ci_u32_e64 v16, null, s15, v8, vcc_lo
	global_store_dwordx2 v[15:16], v[13:14], off
.LBB45_38:                              ;   in Loop: Header=BB45_8 Depth=2
	s_or_b32 exec_lo, exec_lo, s41
	s_andn2_b32 s41, s38, exec_lo
	s_and_b32 s42, s42, exec_lo
	s_or_b32 s41, s41, s42
.LBB45_39:                              ;   in Loop: Header=BB45_8 Depth=2
	s_or_b32 exec_lo, exec_lo, s40
	s_andn2_b32 s38, s38, exec_lo
	s_and_b32 s40, s41, exec_lo
	s_or_b32 s38, s38, s40
.LBB45_40:                              ;   in Loop: Header=BB45_8 Depth=2
	s_or_b32 exec_lo, exec_lo, s39
	s_and_b32 s38, s38, exec_lo
                                        ; implicit-def: $vgpr13_vgpr14
                                        ; implicit-def: $vgpr7_vgpr8
	s_andn2_saveexec_b32 s1, s1
	s_cbranch_execz .LBB45_27
.LBB45_41:                              ;   in Loop: Header=BB45_8 Depth=2
	s_mov_b32 s40, s38
	s_mov_b32 s39, exec_lo
                                        ; implicit-def: $vgpr15_vgpr16
	v_cmpx_lt_i32_e64 v2, v22
	s_cbranch_execz .LBB45_49
; %bb.42:                               ;   in Loop: Header=BB45_8 Depth=2
	s_mov_b32 s41, 0
                                        ; implicit-def: $sgpr40
                                        ; implicit-def: $sgpr43
                                        ; implicit-def: $sgpr42
	s_inst_prefetch 0x1
	s_branch .LBB45_44
	.p2align	6
.LBB45_43:                              ;   in Loop: Header=BB45_44 Depth=3
	s_or_b32 exec_lo, exec_lo, s44
	s_and_b32 s44, exec_lo, s43
	s_or_b32 s41, s44, s41
	s_andn2_b32 s40, s40, exec_lo
	s_and_b32 s44, s42, exec_lo
	s_or_b32 s40, s40, s44
	s_andn2_b32 exec_lo, exec_lo, s41
	s_cbranch_execz .LBB45_46
.LBB45_44:                              ;   Parent Loop BB45_4 Depth=1
                                        ;     Parent Loop BB45_8 Depth=2
                                        ; =>    This Inner Loop Header: Depth=3
	v_add_nc_u32_e32 v11, v6, v2
	s_or_b32 s42, s42, exec_lo
	s_or_b32 s43, s43, exec_lo
	s_mov_b32 s44, exec_lo
	v_ashrrev_i32_e32 v12, 31, v11
	v_lshlrev_b64 v[15:16], 2, v[11:12]
	v_add_co_u32 v15, vcc_lo, s20, v15
	v_add_co_ci_u32_e64 v16, null, s21, v16, vcc_lo
	global_load_dword v5, v[15:16], off
	s_waitcnt vmcnt(0)
	v_subrev_nc_u32_e32 v5, s34, v5
	v_cmpx_ne_u32_e64 v5, v7
	s_cbranch_execz .LBB45_43
; %bb.45:                               ;   in Loop: Header=BB45_44 Depth=3
	v_add_nc_u32_e32 v2, 1, v2
	s_andn2_b32 s43, s43, exec_lo
	s_andn2_b32 s42, s42, exec_lo
	v_cmp_ge_i32_e32 vcc_lo, v2, v22
	s_and_b32 s45, vcc_lo, exec_lo
	s_or_b32 s43, s43, s45
	s_branch .LBB45_43
.LBB45_46:                              ;   in Loop: Header=BB45_8 Depth=2
	s_inst_prefetch 0x2
	s_or_b32 exec_lo, exec_lo, s41
	s_mov_b32 s41, s38
                                        ; implicit-def: $vgpr15_vgpr16
	s_and_saveexec_b32 s42, s40
	s_xor_b32 s40, exec_lo, s42
	s_cbranch_execz .LBB45_48
; %bb.47:                               ;   in Loop: Header=BB45_8 Depth=2
	v_lshlrev_b64 v[7:8], 4, v[11:12]
	s_or_b32 s41, s38, exec_lo
	v_add_co_u32 v15, vcc_lo, s22, v7
	v_add_co_ci_u32_e64 v16, null, s23, v8, vcc_lo
	global_store_dwordx2 v[15:16], v[13:14], off
.LBB45_48:                              ;   in Loop: Header=BB45_8 Depth=2
	s_or_b32 exec_lo, exec_lo, s40
	s_andn2_b32 s40, s38, exec_lo
	s_and_b32 s41, s41, exec_lo
	s_or_b32 s40, s40, s41
.LBB45_49:                              ;   in Loop: Header=BB45_8 Depth=2
	s_or_b32 exec_lo, exec_lo, s39
	s_andn2_b32 s38, s38, exec_lo
	s_and_b32 s39, s40, exec_lo
	s_or_b32 s38, s38, s39
	s_or_b32 exec_lo, exec_lo, s1
	s_and_b32 exec_lo, exec_lo, s38
	s_cbranch_execz .LBB45_7
.LBB45_50:                              ;   in Loop: Header=BB45_8 Depth=2
	global_store_dwordx2 v[15:16], v[9:10], off offset:8
	s_branch .LBB45_7
.LBB45_51:
	s_endpgm
	.section	.rodata,"a",@progbits
	.p2align	6, 0x0
	.amdhsa_kernel _ZN9rocsparseL25kernel_correction_no_normILi1024ELi8E21rocsparse_complex_numIdEiiEEvT3_T2_PKS4_S6_PKS3_PKT1_21rocsparse_index_base_S6_S6_S8_PS9_SC_S6_S6_S8_SD_SC_SD_
		.amdhsa_group_segment_fixed_size 0
		.amdhsa_private_segment_fixed_size 0
		.amdhsa_kernarg_size 136
		.amdhsa_user_sgpr_count 6
		.amdhsa_user_sgpr_private_segment_buffer 1
		.amdhsa_user_sgpr_dispatch_ptr 0
		.amdhsa_user_sgpr_queue_ptr 0
		.amdhsa_user_sgpr_kernarg_segment_ptr 1
		.amdhsa_user_sgpr_dispatch_id 0
		.amdhsa_user_sgpr_flat_scratch_init 0
		.amdhsa_user_sgpr_private_segment_size 0
		.amdhsa_wavefront_size32 1
		.amdhsa_uses_dynamic_stack 0
		.amdhsa_system_sgpr_private_segment_wavefront_offset 0
		.amdhsa_system_sgpr_workgroup_id_x 1
		.amdhsa_system_sgpr_workgroup_id_y 0
		.amdhsa_system_sgpr_workgroup_id_z 0
		.amdhsa_system_sgpr_workgroup_info 0
		.amdhsa_system_vgpr_workitem_id 0
		.amdhsa_next_free_vgpr 37
		.amdhsa_next_free_sgpr 47
		.amdhsa_reserve_vcc 1
		.amdhsa_reserve_flat_scratch 0
		.amdhsa_float_round_mode_32 0
		.amdhsa_float_round_mode_16_64 0
		.amdhsa_float_denorm_mode_32 3
		.amdhsa_float_denorm_mode_16_64 3
		.amdhsa_dx10_clamp 1
		.amdhsa_ieee_mode 1
		.amdhsa_fp16_overflow 0
		.amdhsa_workgroup_processor_mode 1
		.amdhsa_memory_ordered 1
		.amdhsa_forward_progress 1
		.amdhsa_shared_vgpr_count 0
		.amdhsa_exception_fp_ieee_invalid_op 0
		.amdhsa_exception_fp_denorm_src 0
		.amdhsa_exception_fp_ieee_div_zero 0
		.amdhsa_exception_fp_ieee_overflow 0
		.amdhsa_exception_fp_ieee_underflow 0
		.amdhsa_exception_fp_ieee_inexact 0
		.amdhsa_exception_int_div_zero 0
	.end_amdhsa_kernel
	.section	.text._ZN9rocsparseL25kernel_correction_no_normILi1024ELi8E21rocsparse_complex_numIdEiiEEvT3_T2_PKS4_S6_PKS3_PKT1_21rocsparse_index_base_S6_S6_S8_PS9_SC_S6_S6_S8_SD_SC_SD_,"axG",@progbits,_ZN9rocsparseL25kernel_correction_no_normILi1024ELi8E21rocsparse_complex_numIdEiiEEvT3_T2_PKS4_S6_PKS3_PKT1_21rocsparse_index_base_S6_S6_S8_PS9_SC_S6_S6_S8_SD_SC_SD_,comdat
.Lfunc_end45:
	.size	_ZN9rocsparseL25kernel_correction_no_normILi1024ELi8E21rocsparse_complex_numIdEiiEEvT3_T2_PKS4_S6_PKS3_PKT1_21rocsparse_index_base_S6_S6_S8_PS9_SC_S6_S6_S8_SD_SC_SD_, .Lfunc_end45-_ZN9rocsparseL25kernel_correction_no_normILi1024ELi8E21rocsparse_complex_numIdEiiEEvT3_T2_PKS4_S6_PKS3_PKT1_21rocsparse_index_base_S6_S6_S8_PS9_SC_S6_S6_S8_SD_SC_SD_
                                        ; -- End function
	.set _ZN9rocsparseL25kernel_correction_no_normILi1024ELi8E21rocsparse_complex_numIdEiiEEvT3_T2_PKS4_S6_PKS3_PKT1_21rocsparse_index_base_S6_S6_S8_PS9_SC_S6_S6_S8_SD_SC_SD_.num_vgpr, 37
	.set _ZN9rocsparseL25kernel_correction_no_normILi1024ELi8E21rocsparse_complex_numIdEiiEEvT3_T2_PKS4_S6_PKS3_PKT1_21rocsparse_index_base_S6_S6_S8_PS9_SC_S6_S6_S8_SD_SC_SD_.num_agpr, 0
	.set _ZN9rocsparseL25kernel_correction_no_normILi1024ELi8E21rocsparse_complex_numIdEiiEEvT3_T2_PKS4_S6_PKS3_PKT1_21rocsparse_index_base_S6_S6_S8_PS9_SC_S6_S6_S8_SD_SC_SD_.numbered_sgpr, 47
	.set _ZN9rocsparseL25kernel_correction_no_normILi1024ELi8E21rocsparse_complex_numIdEiiEEvT3_T2_PKS4_S6_PKS3_PKT1_21rocsparse_index_base_S6_S6_S8_PS9_SC_S6_S6_S8_SD_SC_SD_.num_named_barrier, 0
	.set _ZN9rocsparseL25kernel_correction_no_normILi1024ELi8E21rocsparse_complex_numIdEiiEEvT3_T2_PKS4_S6_PKS3_PKT1_21rocsparse_index_base_S6_S6_S8_PS9_SC_S6_S6_S8_SD_SC_SD_.private_seg_size, 0
	.set _ZN9rocsparseL25kernel_correction_no_normILi1024ELi8E21rocsparse_complex_numIdEiiEEvT3_T2_PKS4_S6_PKS3_PKT1_21rocsparse_index_base_S6_S6_S8_PS9_SC_S6_S6_S8_SD_SC_SD_.uses_vcc, 1
	.set _ZN9rocsparseL25kernel_correction_no_normILi1024ELi8E21rocsparse_complex_numIdEiiEEvT3_T2_PKS4_S6_PKS3_PKT1_21rocsparse_index_base_S6_S6_S8_PS9_SC_S6_S6_S8_SD_SC_SD_.uses_flat_scratch, 0
	.set _ZN9rocsparseL25kernel_correction_no_normILi1024ELi8E21rocsparse_complex_numIdEiiEEvT3_T2_PKS4_S6_PKS3_PKT1_21rocsparse_index_base_S6_S6_S8_PS9_SC_S6_S6_S8_SD_SC_SD_.has_dyn_sized_stack, 0
	.set _ZN9rocsparseL25kernel_correction_no_normILi1024ELi8E21rocsparse_complex_numIdEiiEEvT3_T2_PKS4_S6_PKS3_PKT1_21rocsparse_index_base_S6_S6_S8_PS9_SC_S6_S6_S8_SD_SC_SD_.has_recursion, 0
	.set _ZN9rocsparseL25kernel_correction_no_normILi1024ELi8E21rocsparse_complex_numIdEiiEEvT3_T2_PKS4_S6_PKS3_PKT1_21rocsparse_index_base_S6_S6_S8_PS9_SC_S6_S6_S8_SD_SC_SD_.has_indirect_call, 0
	.section	.AMDGPU.csdata,"",@progbits
; Kernel info:
; codeLenInByte = 2620
; TotalNumSgprs: 49
; NumVgprs: 37
; ScratchSize: 0
; MemoryBound: 1
; FloatMode: 240
; IeeeMode: 1
; LDSByteSize: 0 bytes/workgroup (compile time only)
; SGPRBlocks: 0
; VGPRBlocks: 4
; NumSGPRsForWavesPerEU: 49
; NumVGPRsForWavesPerEU: 37
; Occupancy: 16
; WaveLimiterHint : 1
; COMPUTE_PGM_RSRC2:SCRATCH_EN: 0
; COMPUTE_PGM_RSRC2:USER_SGPR: 6
; COMPUTE_PGM_RSRC2:TRAP_HANDLER: 0
; COMPUTE_PGM_RSRC2:TGID_X_EN: 1
; COMPUTE_PGM_RSRC2:TGID_Y_EN: 0
; COMPUTE_PGM_RSRC2:TGID_Z_EN: 0
; COMPUTE_PGM_RSRC2:TIDIG_COMP_CNT: 0
	.section	.text._ZN9rocsparseL25kernel_correction_no_normILi1024ELi16E21rocsparse_complex_numIdEiiEEvT3_T2_PKS4_S6_PKS3_PKT1_21rocsparse_index_base_S6_S6_S8_PS9_SC_S6_S6_S8_SD_SC_SD_,"axG",@progbits,_ZN9rocsparseL25kernel_correction_no_normILi1024ELi16E21rocsparse_complex_numIdEiiEEvT3_T2_PKS4_S6_PKS3_PKT1_21rocsparse_index_base_S6_S6_S8_PS9_SC_S6_S6_S8_SD_SC_SD_,comdat
	.globl	_ZN9rocsparseL25kernel_correction_no_normILi1024ELi16E21rocsparse_complex_numIdEiiEEvT3_T2_PKS4_S6_PKS3_PKT1_21rocsparse_index_base_S6_S6_S8_PS9_SC_S6_S6_S8_SD_SC_SD_ ; -- Begin function _ZN9rocsparseL25kernel_correction_no_normILi1024ELi16E21rocsparse_complex_numIdEiiEEvT3_T2_PKS4_S6_PKS3_PKT1_21rocsparse_index_base_S6_S6_S8_PS9_SC_S6_S6_S8_SD_SC_SD_
	.p2align	8
	.type	_ZN9rocsparseL25kernel_correction_no_normILi1024ELi16E21rocsparse_complex_numIdEiiEEvT3_T2_PKS4_S6_PKS3_PKT1_21rocsparse_index_base_S6_S6_S8_PS9_SC_S6_S6_S8_SD_SC_SD_,@function
_ZN9rocsparseL25kernel_correction_no_normILi1024ELi16E21rocsparse_complex_numIdEiiEEvT3_T2_PKS4_S6_PKS3_PKT1_21rocsparse_index_base_S6_S6_S8_PS9_SC_S6_S6_S8_SD_SC_SD_: ; @_ZN9rocsparseL25kernel_correction_no_normILi1024ELi16E21rocsparse_complex_numIdEiiEEvT3_T2_PKS4_S6_PKS3_PKT1_21rocsparse_index_base_S6_S6_S8_PS9_SC_S6_S6_S8_SD_SC_SD_
; %bb.0:
	s_load_dword s7, s[4:5], 0x0
	v_lshrrev_b32_e32 v1, 4, v0
	s_lshl_b32 s6, s6, 10
	s_mov_b32 s0, exec_lo
	v_or_b32_e32 v1, s6, v1
	s_waitcnt lgkmcnt(0)
	v_cmpx_gt_i32_e64 s7, v1
	s_cbranch_execz .LBB46_51
; %bb.1:
	s_addk_i32 s6, 0x400
	v_cmp_gt_u32_e32 vcc_lo, s6, v1
	s_and_b32 exec_lo, exec_lo, vcc_lo
	s_cbranch_execz .LBB46_51
; %bb.2:
	s_clause 0x6
	s_load_dword s33, s[4:5], 0x28
	s_load_dwordx8 s[8:15], s[4:5], 0x58
	s_load_dwordx8 s[16:23], s[4:5], 0x30
	;; [unrolled: 1-line block ×3, first 2 shown]
	s_load_dword s34, s[4:5], 0x50
	s_load_dwordx2 s[2:3], s[4:5], 0x80
	s_load_dword s4, s[4:5], 0x78
	v_and_b32_e32 v0, 15, v0
	v_mov_b32_e32 v3, 0
	s_mov_b32 s5, 0
	s_waitcnt lgkmcnt(0)
	v_subrev_nc_u32_e32 v0, s33, v0
	s_branch .LBB46_4
.LBB46_3:                               ;   in Loop: Header=BB46_4 Depth=1
	s_or_b32 exec_lo, exec_lo, s35
	v_add_nc_u32_e32 v1, 64, v1
	v_cmp_le_u32_e32 vcc_lo, s6, v1
	s_or_b32 s5, vcc_lo, s5
	s_andn2_b32 exec_lo, exec_lo, s5
	s_cbranch_execz .LBB46_51
.LBB46_4:                               ; =>This Loop Header: Depth=1
                                        ;     Child Loop BB46_8 Depth 2
                                        ;       Child Loop BB46_12 Depth 3
                                        ;       Child Loop BB46_34 Depth 3
	;; [unrolled: 1-line block ×3, first 2 shown]
	s_mov_b32 s35, exec_lo
	v_cmpx_gt_i32_e64 s7, v1
	s_cbranch_execz .LBB46_3
; %bb.5:                                ;   in Loop: Header=BB46_4 Depth=1
	v_ashrrev_i32_e32 v2, 31, v1
	v_lshlrev_b64 v[5:6], 2, v[1:2]
	v_add_co_u32 v7, vcc_lo, s24, v5
	v_add_co_ci_u32_e64 v8, null, s25, v6, vcc_lo
	v_add_co_u32 v9, vcc_lo, s26, v5
	v_add_co_ci_u32_e64 v10, null, s27, v6, vcc_lo
	global_load_dword v2, v[7:8], off
	global_load_dword v7, v[9:10], off
	s_waitcnt vmcnt(1)
	v_add_nc_u32_e32 v4, v0, v2
	s_waitcnt vmcnt(0)
	v_subrev_nc_u32_e32 v21, s33, v7
	v_cmp_lt_i32_e32 vcc_lo, v4, v21
	s_and_b32 exec_lo, exec_lo, vcc_lo
	s_cbranch_execz .LBB46_3
; %bb.6:                                ;   in Loop: Header=BB46_4 Depth=1
	v_add_co_u32 v7, vcc_lo, s16, v5
	v_add_co_ci_u32_e64 v8, null, s17, v6, vcc_lo
	v_add_co_u32 v5, vcc_lo, s18, v5
	v_add_co_ci_u32_e64 v6, null, s19, v6, vcc_lo
	global_load_dword v2, v[7:8], off
	s_mov_b32 s36, 0
	global_load_dword v5, v[5:6], off
	s_waitcnt vmcnt(1)
	v_subrev_nc_u32_e32 v6, s34, v2
	s_waitcnt vmcnt(0)
	v_sub_nc_u32_e32 v22, v5, v2
	v_ashrrev_i32_e32 v7, 31, v6
	v_cmp_lt_i32_e64 s0, 0, v22
	v_lshlrev_b64 v[8:9], 2, v[6:7]
	v_lshlrev_b64 v[10:11], 4, v[6:7]
	v_add_co_u32 v23, vcc_lo, s20, v8
	v_add_co_ci_u32_e64 v24, null, s21, v9, vcc_lo
	v_add_co_u32 v25, vcc_lo, s22, v10
	v_add_co_ci_u32_e64 v26, null, s23, v11, vcc_lo
	s_branch .LBB46_8
.LBB46_7:                               ;   in Loop: Header=BB46_8 Depth=2
	s_or_b32 exec_lo, exec_lo, s37
	v_add_nc_u32_e32 v4, 16, v4
	v_cmp_ge_i32_e32 vcc_lo, v4, v21
	s_or_b32 s36, vcc_lo, s36
	s_andn2_b32 exec_lo, exec_lo, s36
	s_cbranch_execz .LBB46_3
.LBB46_8:                               ;   Parent Loop BB46_4 Depth=1
                                        ; =>  This Loop Header: Depth=2
                                        ;       Child Loop BB46_12 Depth 3
                                        ;       Child Loop BB46_34 Depth 3
	;; [unrolled: 1-line block ×3, first 2 shown]
	v_ashrrev_i32_e32 v5, 31, v4
	v_mov_b32_e32 v15, 0
	v_mov_b32_e32 v16, 0
	v_lshlrev_b64 v[7:8], 2, v[4:5]
	v_add_co_u32 v7, vcc_lo, s28, v7
	v_add_co_ci_u32_e64 v8, null, s29, v8, vcc_lo
	global_load_dword v2, v[7:8], off
	s_waitcnt vmcnt(0)
	v_subrev_nc_u32_e32 v7, s33, v2
	v_mov_b32_e32 v2, 0
	v_ashrrev_i32_e32 v8, 31, v7
	v_lshlrev_b64 v[9:10], 2, v[7:8]
	v_add_co_u32 v11, vcc_lo, s8, v9
	v_add_co_ci_u32_e64 v12, null, s9, v10, vcc_lo
	v_add_co_u32 v9, vcc_lo, s10, v9
	v_add_co_ci_u32_e64 v10, null, s11, v10, vcc_lo
	global_load_dword v12, v[11:12], off
	global_load_dword v13, v[9:10], off
	v_mov_b32_e32 v9, 0
	v_mov_b32_e32 v10, 0
	s_waitcnt vmcnt(1)
	v_subrev_nc_u32_e32 v11, s4, v12
	s_waitcnt vmcnt(0)
	v_sub_nc_u32_e32 v27, v13, v12
	v_mov_b32_e32 v12, v2
	s_and_saveexec_b32 s37, s0
	s_cbranch_execz .LBB46_16
; %bb.9:                                ;   in Loop: Header=BB46_8 Depth=2
	v_ashrrev_i32_e32 v12, 31, v11
	v_mov_b32_e32 v9, 0
	v_mov_b32_e32 v10, 0
	;; [unrolled: 1-line block ×3, first 2 shown]
	s_mov_b32 s38, 0
	v_lshlrev_b64 v[14:15], 2, v[11:12]
	v_lshlrev_b64 v[12:13], 4, v[11:12]
                                        ; implicit-def: $sgpr39
	v_add_co_u32 v14, vcc_lo, s12, v14
	v_add_co_ci_u32_e64 v17, null, s13, v15, vcc_lo
	v_add_co_u32 v18, vcc_lo, s14, v12
	v_mov_b32_e32 v15, 0
	v_add_co_ci_u32_e64 v19, null, s15, v13, vcc_lo
	v_mov_b32_e32 v12, 0
	v_mov_b32_e32 v16, 0
	s_branch .LBB46_12
.LBB46_10:                              ;   in Loop: Header=BB46_12 Depth=3
	s_or_b32 exec_lo, exec_lo, s1
	v_cmp_le_i32_e32 vcc_lo, v20, v28
	v_cmp_ge_i32_e64 s1, v20, v28
	v_add_co_ci_u32_e64 v2, null, 0, v2, vcc_lo
	v_add_co_ci_u32_e64 v12, null, 0, v12, s1
	s_andn2_b32 s1, s39, exec_lo
	v_cmp_ge_i32_e32 vcc_lo, v2, v22
	s_and_b32 s39, vcc_lo, exec_lo
	s_or_b32 s39, s1, s39
.LBB46_11:                              ;   in Loop: Header=BB46_12 Depth=3
	s_or_b32 exec_lo, exec_lo, s40
	s_and_b32 s1, exec_lo, s39
	s_or_b32 s38, s1, s38
	s_andn2_b32 exec_lo, exec_lo, s38
	s_cbranch_execz .LBB46_15
.LBB46_12:                              ;   Parent Loop BB46_4 Depth=1
                                        ;     Parent Loop BB46_8 Depth=2
                                        ; =>    This Inner Loop Header: Depth=3
	s_or_b32 s39, s39, exec_lo
	s_mov_b32 s40, exec_lo
	v_cmpx_lt_i32_e64 v12, v27
	s_cbranch_execz .LBB46_11
; %bb.13:                               ;   in Loop: Header=BB46_12 Depth=3
	v_mov_b32_e32 v13, v3
	v_lshlrev_b64 v[28:29], 2, v[2:3]
	s_mov_b32 s1, exec_lo
	v_lshlrev_b64 v[30:31], 2, v[12:13]
	v_add_co_u32 v28, vcc_lo, v23, v28
	v_add_co_ci_u32_e64 v29, null, v24, v29, vcc_lo
	v_add_co_u32 v30, vcc_lo, v14, v30
	v_add_co_ci_u32_e64 v31, null, v17, v31, vcc_lo
	global_load_dword v20, v[28:29], off
	global_load_dword v28, v[30:31], off
	s_waitcnt vmcnt(1)
	v_subrev_nc_u32_e32 v20, s34, v20
	s_waitcnt vmcnt(0)
	v_subrev_nc_u32_e32 v28, s4, v28
	v_cmpx_eq_u32_e64 v20, v28
	s_cbranch_execz .LBB46_10
; %bb.14:                               ;   in Loop: Header=BB46_12 Depth=3
	v_lshlrev_b64 v[29:30], 4, v[2:3]
	v_lshlrev_b64 v[31:32], 4, v[12:13]
	v_add_co_u32 v29, vcc_lo, v25, v29
	v_add_co_ci_u32_e64 v30, null, v26, v30, vcc_lo
	v_add_co_u32 v33, vcc_lo, v18, v31
	v_add_co_ci_u32_e64 v34, null, v19, v32, vcc_lo
	global_load_dwordx4 v[29:32], v[29:30], off
	global_load_dwordx4 v[33:36], v[33:34], off
	s_waitcnt vmcnt(0)
	v_fma_f64 v[9:10], v[29:30], v[33:34], v[9:10]
	v_fma_f64 v[15:16], v[31:32], v[33:34], v[15:16]
	v_fma_f64 v[9:10], -v[31:32], v[35:36], v[9:10]
	v_fma_f64 v[15:16], v[29:30], v[35:36], v[15:16]
	s_branch .LBB46_10
.LBB46_15:                              ;   in Loop: Header=BB46_8 Depth=2
	s_or_b32 exec_lo, exec_lo, s38
.LBB46_16:                              ;   in Loop: Header=BB46_8 Depth=2
	s_or_b32 exec_lo, exec_lo, s37
	v_lshlrev_b64 v[13:14], 4, v[4:5]
	v_cmp_le_i32_e64 s1, v1, v7
	s_mov_b32 s37, exec_lo
	v_add_co_u32 v13, vcc_lo, s30, v13
	v_add_co_ci_u32_e64 v14, null, s31, v14, vcc_lo
	global_load_dwordx4 v[17:20], v[13:14], off
	s_waitcnt vmcnt(0)
	v_add_f64 v[13:14], v[17:18], -v[9:10]
	v_add_f64 v[9:10], v[19:20], -v[15:16]
	v_cmpx_gt_i32_e64 v1, v7
	s_cbranch_execz .LBB46_18
; %bb.17:                               ;   in Loop: Header=BB46_8 Depth=2
	v_lshlrev_b64 v[15:16], 4, v[7:8]
	v_add_co_u32 v15, vcc_lo, s2, v15
	v_add_co_ci_u32_e64 v16, null, s3, v16, vcc_lo
	global_load_dwordx4 v[15:18], v[15:16], off
	s_waitcnt vmcnt(0)
	v_mul_f64 v[19:20], v[17:18], v[17:18]
	v_fma_f64 v[19:20], v[15:16], v[15:16], v[19:20]
	v_div_scale_f64 v[28:29], null, v[19:20], v[19:20], 1.0
	v_div_scale_f64 v[34:35], vcc_lo, 1.0, v[19:20], 1.0
	v_rcp_f64_e32 v[30:31], v[28:29]
	v_fma_f64 v[32:33], -v[28:29], v[30:31], 1.0
	v_fma_f64 v[30:31], v[30:31], v[32:33], v[30:31]
	v_fma_f64 v[32:33], -v[28:29], v[30:31], 1.0
	v_fma_f64 v[30:31], v[30:31], v[32:33], v[30:31]
	v_mul_f64 v[32:33], v[34:35], v[30:31]
	v_fma_f64 v[28:29], -v[28:29], v[32:33], v[34:35]
	v_div_fmas_f64 v[28:29], v[28:29], v[30:31], v[32:33]
	v_mul_f64 v[30:31], v[9:10], v[17:18]
	v_mul_f64 v[17:18], v[17:18], -v[13:14]
	v_div_fixup_f64 v[19:20], v[28:29], v[19:20], 1.0
	v_fma_f64 v[13:14], v[13:14], v[15:16], v[30:31]
	v_fma_f64 v[9:10], v[9:10], v[15:16], v[17:18]
	v_mul_f64 v[13:14], v[13:14], v[19:20]
	v_mul_f64 v[9:10], v[9:10], v[19:20]
.LBB46_18:                              ;   in Loop: Header=BB46_8 Depth=2
	s_or_b32 exec_lo, exec_lo, s37
	v_cmp_gt_f64_e32 vcc_lo, 0, v[13:14]
	v_xor_b32_e32 v5, 0x80000000, v14
	v_xor_b32_e32 v17, 0x80000000, v10
	v_mov_b32_e32 v15, v13
	s_mov_b32 s37, exec_lo
                                        ; implicit-def: $vgpr19_vgpr20
	v_cndmask_b32_e32 v16, v14, v5, vcc_lo
	v_cmp_gt_f64_e32 vcc_lo, 0, v[9:10]
	v_cndmask_b32_e32 v18, v10, v17, vcc_lo
	v_mov_b32_e32 v17, v9
	v_cmpx_ngt_f64_e32 v[15:16], v[17:18]
	s_xor_b32 s37, exec_lo, s37
	s_cbranch_execnz .LBB46_21
; %bb.19:                               ;   in Loop: Header=BB46_8 Depth=2
	s_andn2_saveexec_b32 s37, s37
	s_cbranch_execnz .LBB46_24
.LBB46_20:                              ;   in Loop: Header=BB46_8 Depth=2
	s_or_b32 exec_lo, exec_lo, s37
	v_cmp_class_f64_e64 s38, v[19:20], 0x1f8
	s_and_saveexec_b32 s37, s38
	s_cbranch_execz .LBB46_7
	s_branch .LBB46_25
.LBB46_21:                              ;   in Loop: Header=BB46_8 Depth=2
	v_mov_b32_e32 v19, 0
	v_mov_b32_e32 v20, 0
	s_mov_b32 s38, exec_lo
	v_cmpx_neq_f64_e32 0, v[9:10]
	s_cbranch_execz .LBB46_23
; %bb.22:                               ;   in Loop: Header=BB46_8 Depth=2
	v_div_scale_f64 v[19:20], null, v[17:18], v[17:18], v[15:16]
	v_div_scale_f64 v[32:33], vcc_lo, v[15:16], v[17:18], v[15:16]
	v_rcp_f64_e32 v[28:29], v[19:20]
	v_fma_f64 v[30:31], -v[19:20], v[28:29], 1.0
	v_fma_f64 v[28:29], v[28:29], v[30:31], v[28:29]
	v_fma_f64 v[30:31], -v[19:20], v[28:29], 1.0
	v_fma_f64 v[28:29], v[28:29], v[30:31], v[28:29]
	v_mul_f64 v[30:31], v[32:33], v[28:29]
	v_fma_f64 v[19:20], -v[19:20], v[30:31], v[32:33]
	v_div_fmas_f64 v[19:20], v[19:20], v[28:29], v[30:31]
	v_div_fixup_f64 v[15:16], v[19:20], v[17:18], v[15:16]
	v_fma_f64 v[15:16], v[15:16], v[15:16], 1.0
	v_cmp_gt_f64_e32 vcc_lo, 0x10000000, v[15:16]
	v_cndmask_b32_e64 v5, 0, 0x100, vcc_lo
	v_ldexp_f64 v[15:16], v[15:16], v5
	v_cndmask_b32_e64 v5, 0, 0xffffff80, vcc_lo
	v_rsq_f64_e32 v[19:20], v[15:16]
	v_cmp_class_f64_e64 vcc_lo, v[15:16], 0x260
	v_mul_f64 v[28:29], v[15:16], v[19:20]
	v_mul_f64 v[19:20], v[19:20], 0.5
	v_fma_f64 v[30:31], -v[19:20], v[28:29], 0.5
	v_fma_f64 v[28:29], v[28:29], v[30:31], v[28:29]
	v_fma_f64 v[19:20], v[19:20], v[30:31], v[19:20]
	v_fma_f64 v[30:31], -v[28:29], v[28:29], v[15:16]
	v_fma_f64 v[28:29], v[30:31], v[19:20], v[28:29]
	v_fma_f64 v[30:31], -v[28:29], v[28:29], v[15:16]
	v_fma_f64 v[19:20], v[30:31], v[19:20], v[28:29]
	v_ldexp_f64 v[19:20], v[19:20], v5
	v_cndmask_b32_e32 v16, v20, v16, vcc_lo
	v_cndmask_b32_e32 v15, v19, v15, vcc_lo
	v_mul_f64 v[19:20], v[17:18], v[15:16]
.LBB46_23:                              ;   in Loop: Header=BB46_8 Depth=2
	s_or_b32 exec_lo, exec_lo, s38
                                        ; implicit-def: $vgpr15_vgpr16
                                        ; implicit-def: $vgpr17_vgpr18
	s_andn2_saveexec_b32 s37, s37
	s_cbranch_execz .LBB46_20
.LBB46_24:                              ;   in Loop: Header=BB46_8 Depth=2
	v_div_scale_f64 v[19:20], null, v[15:16], v[15:16], v[17:18]
	v_div_scale_f64 v[32:33], vcc_lo, v[17:18], v[15:16], v[17:18]
	v_rcp_f64_e32 v[28:29], v[19:20]
	v_fma_f64 v[30:31], -v[19:20], v[28:29], 1.0
	v_fma_f64 v[28:29], v[28:29], v[30:31], v[28:29]
	v_fma_f64 v[30:31], -v[19:20], v[28:29], 1.0
	v_fma_f64 v[28:29], v[28:29], v[30:31], v[28:29]
	v_mul_f64 v[30:31], v[32:33], v[28:29]
	v_fma_f64 v[19:20], -v[19:20], v[30:31], v[32:33]
	v_div_fmas_f64 v[19:20], v[19:20], v[28:29], v[30:31]
	v_div_fixup_f64 v[17:18], v[19:20], v[15:16], v[17:18]
	v_fma_f64 v[17:18], v[17:18], v[17:18], 1.0
	v_cmp_gt_f64_e32 vcc_lo, 0x10000000, v[17:18]
	v_cndmask_b32_e64 v5, 0, 0x100, vcc_lo
	v_ldexp_f64 v[17:18], v[17:18], v5
	v_cndmask_b32_e64 v5, 0, 0xffffff80, vcc_lo
	v_rsq_f64_e32 v[19:20], v[17:18]
	v_cmp_class_f64_e64 vcc_lo, v[17:18], 0x260
	v_mul_f64 v[28:29], v[17:18], v[19:20]
	v_mul_f64 v[19:20], v[19:20], 0.5
	v_fma_f64 v[30:31], -v[19:20], v[28:29], 0.5
	v_fma_f64 v[28:29], v[28:29], v[30:31], v[28:29]
	v_fma_f64 v[19:20], v[19:20], v[30:31], v[19:20]
	v_fma_f64 v[30:31], -v[28:29], v[28:29], v[17:18]
	v_fma_f64 v[28:29], v[30:31], v[19:20], v[28:29]
	v_fma_f64 v[30:31], -v[28:29], v[28:29], v[17:18]
	v_fma_f64 v[19:20], v[30:31], v[19:20], v[28:29]
	v_ldexp_f64 v[19:20], v[19:20], v5
	v_cndmask_b32_e32 v18, v20, v18, vcc_lo
	v_cndmask_b32_e32 v17, v19, v17, vcc_lo
	v_mul_f64 v[19:20], v[15:16], v[17:18]
	s_or_b32 exec_lo, exec_lo, s37
	v_cmp_class_f64_e64 s38, v[19:20], 0x1f8
	s_and_saveexec_b32 s37, s38
	s_cbranch_execz .LBB46_7
.LBB46_25:                              ;   in Loop: Header=BB46_8 Depth=2
	s_mov_b32 s38, 0
                                        ; implicit-def: $vgpr15_vgpr16
	s_and_saveexec_b32 s39, s1
	s_xor_b32 s1, exec_lo, s39
	s_cbranch_execnz .LBB46_28
; %bb.26:                               ;   in Loop: Header=BB46_8 Depth=2
	s_andn2_saveexec_b32 s1, s1
	s_cbranch_execnz .LBB46_41
.LBB46_27:                              ;   in Loop: Header=BB46_8 Depth=2
	s_or_b32 exec_lo, exec_lo, s1
	s_and_b32 exec_lo, exec_lo, s38
	s_cbranch_execz .LBB46_7
	s_branch .LBB46_50
.LBB46_28:                              ;   in Loop: Header=BB46_8 Depth=2
	s_mov_b32 s39, exec_lo
                                        ; implicit-def: $vgpr15_vgpr16
	v_cmpx_ge_i32_e64 v1, v7
	s_xor_b32 s39, exec_lo, s39
	s_cbranch_execz .LBB46_30
; %bb.29:                               ;   in Loop: Header=BB46_8 Depth=2
	v_lshlrev_b64 v[7:8], 4, v[7:8]
	s_mov_b32 s38, exec_lo
                                        ; implicit-def: $vgpr12
                                        ; implicit-def: $vgpr27
                                        ; implicit-def: $vgpr11
	v_add_co_u32 v15, vcc_lo, s2, v7
	v_add_co_ci_u32_e64 v16, null, s3, v8, vcc_lo
	global_store_dwordx2 v[15:16], v[13:14], off
                                        ; implicit-def: $vgpr13_vgpr14
.LBB46_30:                              ;   in Loop: Header=BB46_8 Depth=2
	s_andn2_saveexec_b32 s39, s39
	s_cbranch_execz .LBB46_40
; %bb.31:                               ;   in Loop: Header=BB46_8 Depth=2
	s_mov_b32 s41, s38
	s_mov_b32 s40, exec_lo
                                        ; implicit-def: $vgpr15_vgpr16
	v_cmpx_lt_i32_e64 v12, v27
	s_cbranch_execz .LBB46_39
; %bb.32:                               ;   in Loop: Header=BB46_8 Depth=2
	s_mov_b32 s42, 0
                                        ; implicit-def: $sgpr41
                                        ; implicit-def: $sgpr44
                                        ; implicit-def: $sgpr43
	s_inst_prefetch 0x1
	s_branch .LBB46_34
	.p2align	6
.LBB46_33:                              ;   in Loop: Header=BB46_34 Depth=3
	s_or_b32 exec_lo, exec_lo, s45
	s_and_b32 s45, exec_lo, s44
	s_or_b32 s42, s45, s42
	s_andn2_b32 s41, s41, exec_lo
	s_and_b32 s45, s43, exec_lo
	s_or_b32 s41, s41, s45
	s_andn2_b32 exec_lo, exec_lo, s42
	s_cbranch_execz .LBB46_36
.LBB46_34:                              ;   Parent Loop BB46_4 Depth=1
                                        ;     Parent Loop BB46_8 Depth=2
                                        ; =>    This Inner Loop Header: Depth=3
	v_add_nc_u32_e32 v7, v11, v12
	s_or_b32 s43, s43, exec_lo
	s_or_b32 s44, s44, exec_lo
	s_mov_b32 s45, exec_lo
	v_ashrrev_i32_e32 v8, 31, v7
	v_lshlrev_b64 v[15:16], 2, v[7:8]
	v_add_co_u32 v15, vcc_lo, s12, v15
	v_add_co_ci_u32_e64 v16, null, s13, v16, vcc_lo
	global_load_dword v2, v[15:16], off
	s_waitcnt vmcnt(0)
	v_subrev_nc_u32_e32 v2, s4, v2
	v_cmpx_ne_u32_e64 v2, v1
	s_cbranch_execz .LBB46_33
; %bb.35:                               ;   in Loop: Header=BB46_34 Depth=3
	v_add_nc_u32_e32 v12, 1, v12
	s_andn2_b32 s44, s44, exec_lo
	s_andn2_b32 s43, s43, exec_lo
	v_cmp_ge_i32_e32 vcc_lo, v12, v27
	s_and_b32 s46, vcc_lo, exec_lo
	s_or_b32 s44, s44, s46
	s_branch .LBB46_33
.LBB46_36:                              ;   in Loop: Header=BB46_8 Depth=2
	s_inst_prefetch 0x2
	s_or_b32 exec_lo, exec_lo, s42
	s_mov_b32 s42, s38
                                        ; implicit-def: $vgpr15_vgpr16
	s_and_saveexec_b32 s43, s41
	s_xor_b32 s41, exec_lo, s43
	s_cbranch_execz .LBB46_38
; %bb.37:                               ;   in Loop: Header=BB46_8 Depth=2
	v_lshlrev_b64 v[7:8], 4, v[7:8]
	s_or_b32 s42, s38, exec_lo
	v_add_co_u32 v15, vcc_lo, s14, v7
	v_add_co_ci_u32_e64 v16, null, s15, v8, vcc_lo
	global_store_dwordx2 v[15:16], v[13:14], off
.LBB46_38:                              ;   in Loop: Header=BB46_8 Depth=2
	s_or_b32 exec_lo, exec_lo, s41
	s_andn2_b32 s41, s38, exec_lo
	s_and_b32 s42, s42, exec_lo
	s_or_b32 s41, s41, s42
.LBB46_39:                              ;   in Loop: Header=BB46_8 Depth=2
	s_or_b32 exec_lo, exec_lo, s40
	s_andn2_b32 s38, s38, exec_lo
	s_and_b32 s40, s41, exec_lo
	s_or_b32 s38, s38, s40
.LBB46_40:                              ;   in Loop: Header=BB46_8 Depth=2
	s_or_b32 exec_lo, exec_lo, s39
	s_and_b32 s38, s38, exec_lo
                                        ; implicit-def: $vgpr13_vgpr14
                                        ; implicit-def: $vgpr7_vgpr8
	s_andn2_saveexec_b32 s1, s1
	s_cbranch_execz .LBB46_27
.LBB46_41:                              ;   in Loop: Header=BB46_8 Depth=2
	s_mov_b32 s40, s38
	s_mov_b32 s39, exec_lo
                                        ; implicit-def: $vgpr15_vgpr16
	v_cmpx_lt_i32_e64 v2, v22
	s_cbranch_execz .LBB46_49
; %bb.42:                               ;   in Loop: Header=BB46_8 Depth=2
	s_mov_b32 s41, 0
                                        ; implicit-def: $sgpr40
                                        ; implicit-def: $sgpr43
                                        ; implicit-def: $sgpr42
	s_inst_prefetch 0x1
	s_branch .LBB46_44
	.p2align	6
.LBB46_43:                              ;   in Loop: Header=BB46_44 Depth=3
	s_or_b32 exec_lo, exec_lo, s44
	s_and_b32 s44, exec_lo, s43
	s_or_b32 s41, s44, s41
	s_andn2_b32 s40, s40, exec_lo
	s_and_b32 s44, s42, exec_lo
	s_or_b32 s40, s40, s44
	s_andn2_b32 exec_lo, exec_lo, s41
	s_cbranch_execz .LBB46_46
.LBB46_44:                              ;   Parent Loop BB46_4 Depth=1
                                        ;     Parent Loop BB46_8 Depth=2
                                        ; =>    This Inner Loop Header: Depth=3
	v_add_nc_u32_e32 v11, v6, v2
	s_or_b32 s42, s42, exec_lo
	s_or_b32 s43, s43, exec_lo
	s_mov_b32 s44, exec_lo
	v_ashrrev_i32_e32 v12, 31, v11
	v_lshlrev_b64 v[15:16], 2, v[11:12]
	v_add_co_u32 v15, vcc_lo, s20, v15
	v_add_co_ci_u32_e64 v16, null, s21, v16, vcc_lo
	global_load_dword v5, v[15:16], off
	s_waitcnt vmcnt(0)
	v_subrev_nc_u32_e32 v5, s34, v5
	v_cmpx_ne_u32_e64 v5, v7
	s_cbranch_execz .LBB46_43
; %bb.45:                               ;   in Loop: Header=BB46_44 Depth=3
	v_add_nc_u32_e32 v2, 1, v2
	s_andn2_b32 s43, s43, exec_lo
	s_andn2_b32 s42, s42, exec_lo
	v_cmp_ge_i32_e32 vcc_lo, v2, v22
	s_and_b32 s45, vcc_lo, exec_lo
	s_or_b32 s43, s43, s45
	s_branch .LBB46_43
.LBB46_46:                              ;   in Loop: Header=BB46_8 Depth=2
	s_inst_prefetch 0x2
	s_or_b32 exec_lo, exec_lo, s41
	s_mov_b32 s41, s38
                                        ; implicit-def: $vgpr15_vgpr16
	s_and_saveexec_b32 s42, s40
	s_xor_b32 s40, exec_lo, s42
	s_cbranch_execz .LBB46_48
; %bb.47:                               ;   in Loop: Header=BB46_8 Depth=2
	v_lshlrev_b64 v[7:8], 4, v[11:12]
	s_or_b32 s41, s38, exec_lo
	v_add_co_u32 v15, vcc_lo, s22, v7
	v_add_co_ci_u32_e64 v16, null, s23, v8, vcc_lo
	global_store_dwordx2 v[15:16], v[13:14], off
.LBB46_48:                              ;   in Loop: Header=BB46_8 Depth=2
	s_or_b32 exec_lo, exec_lo, s40
	s_andn2_b32 s40, s38, exec_lo
	s_and_b32 s41, s41, exec_lo
	s_or_b32 s40, s40, s41
.LBB46_49:                              ;   in Loop: Header=BB46_8 Depth=2
	s_or_b32 exec_lo, exec_lo, s39
	s_andn2_b32 s38, s38, exec_lo
	s_and_b32 s39, s40, exec_lo
	s_or_b32 s38, s38, s39
	s_or_b32 exec_lo, exec_lo, s1
	s_and_b32 exec_lo, exec_lo, s38
	s_cbranch_execz .LBB46_7
.LBB46_50:                              ;   in Loop: Header=BB46_8 Depth=2
	global_store_dwordx2 v[15:16], v[9:10], off offset:8
	s_branch .LBB46_7
.LBB46_51:
	s_endpgm
	.section	.rodata,"a",@progbits
	.p2align	6, 0x0
	.amdhsa_kernel _ZN9rocsparseL25kernel_correction_no_normILi1024ELi16E21rocsparse_complex_numIdEiiEEvT3_T2_PKS4_S6_PKS3_PKT1_21rocsparse_index_base_S6_S6_S8_PS9_SC_S6_S6_S8_SD_SC_SD_
		.amdhsa_group_segment_fixed_size 0
		.amdhsa_private_segment_fixed_size 0
		.amdhsa_kernarg_size 136
		.amdhsa_user_sgpr_count 6
		.amdhsa_user_sgpr_private_segment_buffer 1
		.amdhsa_user_sgpr_dispatch_ptr 0
		.amdhsa_user_sgpr_queue_ptr 0
		.amdhsa_user_sgpr_kernarg_segment_ptr 1
		.amdhsa_user_sgpr_dispatch_id 0
		.amdhsa_user_sgpr_flat_scratch_init 0
		.amdhsa_user_sgpr_private_segment_size 0
		.amdhsa_wavefront_size32 1
		.amdhsa_uses_dynamic_stack 0
		.amdhsa_system_sgpr_private_segment_wavefront_offset 0
		.amdhsa_system_sgpr_workgroup_id_x 1
		.amdhsa_system_sgpr_workgroup_id_y 0
		.amdhsa_system_sgpr_workgroup_id_z 0
		.amdhsa_system_sgpr_workgroup_info 0
		.amdhsa_system_vgpr_workitem_id 0
		.amdhsa_next_free_vgpr 37
		.amdhsa_next_free_sgpr 47
		.amdhsa_reserve_vcc 1
		.amdhsa_reserve_flat_scratch 0
		.amdhsa_float_round_mode_32 0
		.amdhsa_float_round_mode_16_64 0
		.amdhsa_float_denorm_mode_32 3
		.amdhsa_float_denorm_mode_16_64 3
		.amdhsa_dx10_clamp 1
		.amdhsa_ieee_mode 1
		.amdhsa_fp16_overflow 0
		.amdhsa_workgroup_processor_mode 1
		.amdhsa_memory_ordered 1
		.amdhsa_forward_progress 1
		.amdhsa_shared_vgpr_count 0
		.amdhsa_exception_fp_ieee_invalid_op 0
		.amdhsa_exception_fp_denorm_src 0
		.amdhsa_exception_fp_ieee_div_zero 0
		.amdhsa_exception_fp_ieee_overflow 0
		.amdhsa_exception_fp_ieee_underflow 0
		.amdhsa_exception_fp_ieee_inexact 0
		.amdhsa_exception_int_div_zero 0
	.end_amdhsa_kernel
	.section	.text._ZN9rocsparseL25kernel_correction_no_normILi1024ELi16E21rocsparse_complex_numIdEiiEEvT3_T2_PKS4_S6_PKS3_PKT1_21rocsparse_index_base_S6_S6_S8_PS9_SC_S6_S6_S8_SD_SC_SD_,"axG",@progbits,_ZN9rocsparseL25kernel_correction_no_normILi1024ELi16E21rocsparse_complex_numIdEiiEEvT3_T2_PKS4_S6_PKS3_PKT1_21rocsparse_index_base_S6_S6_S8_PS9_SC_S6_S6_S8_SD_SC_SD_,comdat
.Lfunc_end46:
	.size	_ZN9rocsparseL25kernel_correction_no_normILi1024ELi16E21rocsparse_complex_numIdEiiEEvT3_T2_PKS4_S6_PKS3_PKT1_21rocsparse_index_base_S6_S6_S8_PS9_SC_S6_S6_S8_SD_SC_SD_, .Lfunc_end46-_ZN9rocsparseL25kernel_correction_no_normILi1024ELi16E21rocsparse_complex_numIdEiiEEvT3_T2_PKS4_S6_PKS3_PKT1_21rocsparse_index_base_S6_S6_S8_PS9_SC_S6_S6_S8_SD_SC_SD_
                                        ; -- End function
	.set _ZN9rocsparseL25kernel_correction_no_normILi1024ELi16E21rocsparse_complex_numIdEiiEEvT3_T2_PKS4_S6_PKS3_PKT1_21rocsparse_index_base_S6_S6_S8_PS9_SC_S6_S6_S8_SD_SC_SD_.num_vgpr, 37
	.set _ZN9rocsparseL25kernel_correction_no_normILi1024ELi16E21rocsparse_complex_numIdEiiEEvT3_T2_PKS4_S6_PKS3_PKT1_21rocsparse_index_base_S6_S6_S8_PS9_SC_S6_S6_S8_SD_SC_SD_.num_agpr, 0
	.set _ZN9rocsparseL25kernel_correction_no_normILi1024ELi16E21rocsparse_complex_numIdEiiEEvT3_T2_PKS4_S6_PKS3_PKT1_21rocsparse_index_base_S6_S6_S8_PS9_SC_S6_S6_S8_SD_SC_SD_.numbered_sgpr, 47
	.set _ZN9rocsparseL25kernel_correction_no_normILi1024ELi16E21rocsparse_complex_numIdEiiEEvT3_T2_PKS4_S6_PKS3_PKT1_21rocsparse_index_base_S6_S6_S8_PS9_SC_S6_S6_S8_SD_SC_SD_.num_named_barrier, 0
	.set _ZN9rocsparseL25kernel_correction_no_normILi1024ELi16E21rocsparse_complex_numIdEiiEEvT3_T2_PKS4_S6_PKS3_PKT1_21rocsparse_index_base_S6_S6_S8_PS9_SC_S6_S6_S8_SD_SC_SD_.private_seg_size, 0
	.set _ZN9rocsparseL25kernel_correction_no_normILi1024ELi16E21rocsparse_complex_numIdEiiEEvT3_T2_PKS4_S6_PKS3_PKT1_21rocsparse_index_base_S6_S6_S8_PS9_SC_S6_S6_S8_SD_SC_SD_.uses_vcc, 1
	.set _ZN9rocsparseL25kernel_correction_no_normILi1024ELi16E21rocsparse_complex_numIdEiiEEvT3_T2_PKS4_S6_PKS3_PKT1_21rocsparse_index_base_S6_S6_S8_PS9_SC_S6_S6_S8_SD_SC_SD_.uses_flat_scratch, 0
	.set _ZN9rocsparseL25kernel_correction_no_normILi1024ELi16E21rocsparse_complex_numIdEiiEEvT3_T2_PKS4_S6_PKS3_PKT1_21rocsparse_index_base_S6_S6_S8_PS9_SC_S6_S6_S8_SD_SC_SD_.has_dyn_sized_stack, 0
	.set _ZN9rocsparseL25kernel_correction_no_normILi1024ELi16E21rocsparse_complex_numIdEiiEEvT3_T2_PKS4_S6_PKS3_PKT1_21rocsparse_index_base_S6_S6_S8_PS9_SC_S6_S6_S8_SD_SC_SD_.has_recursion, 0
	.set _ZN9rocsparseL25kernel_correction_no_normILi1024ELi16E21rocsparse_complex_numIdEiiEEvT3_T2_PKS4_S6_PKS3_PKT1_21rocsparse_index_base_S6_S6_S8_PS9_SC_S6_S6_S8_SD_SC_SD_.has_indirect_call, 0
	.section	.AMDGPU.csdata,"",@progbits
; Kernel info:
; codeLenInByte = 2620
; TotalNumSgprs: 49
; NumVgprs: 37
; ScratchSize: 0
; MemoryBound: 1
; FloatMode: 240
; IeeeMode: 1
; LDSByteSize: 0 bytes/workgroup (compile time only)
; SGPRBlocks: 0
; VGPRBlocks: 4
; NumSGPRsForWavesPerEU: 49
; NumVGPRsForWavesPerEU: 37
; Occupancy: 16
; WaveLimiterHint : 1
; COMPUTE_PGM_RSRC2:SCRATCH_EN: 0
; COMPUTE_PGM_RSRC2:USER_SGPR: 6
; COMPUTE_PGM_RSRC2:TRAP_HANDLER: 0
; COMPUTE_PGM_RSRC2:TGID_X_EN: 1
; COMPUTE_PGM_RSRC2:TGID_Y_EN: 0
; COMPUTE_PGM_RSRC2:TGID_Z_EN: 0
; COMPUTE_PGM_RSRC2:TIDIG_COMP_CNT: 0
	.section	.text._ZN9rocsparseL25kernel_correction_no_normILi1024ELi32E21rocsparse_complex_numIdEiiEEvT3_T2_PKS4_S6_PKS3_PKT1_21rocsparse_index_base_S6_S6_S8_PS9_SC_S6_S6_S8_SD_SC_SD_,"axG",@progbits,_ZN9rocsparseL25kernel_correction_no_normILi1024ELi32E21rocsparse_complex_numIdEiiEEvT3_T2_PKS4_S6_PKS3_PKT1_21rocsparse_index_base_S6_S6_S8_PS9_SC_S6_S6_S8_SD_SC_SD_,comdat
	.globl	_ZN9rocsparseL25kernel_correction_no_normILi1024ELi32E21rocsparse_complex_numIdEiiEEvT3_T2_PKS4_S6_PKS3_PKT1_21rocsparse_index_base_S6_S6_S8_PS9_SC_S6_S6_S8_SD_SC_SD_ ; -- Begin function _ZN9rocsparseL25kernel_correction_no_normILi1024ELi32E21rocsparse_complex_numIdEiiEEvT3_T2_PKS4_S6_PKS3_PKT1_21rocsparse_index_base_S6_S6_S8_PS9_SC_S6_S6_S8_SD_SC_SD_
	.p2align	8
	.type	_ZN9rocsparseL25kernel_correction_no_normILi1024ELi32E21rocsparse_complex_numIdEiiEEvT3_T2_PKS4_S6_PKS3_PKT1_21rocsparse_index_base_S6_S6_S8_PS9_SC_S6_S6_S8_SD_SC_SD_,@function
_ZN9rocsparseL25kernel_correction_no_normILi1024ELi32E21rocsparse_complex_numIdEiiEEvT3_T2_PKS4_S6_PKS3_PKT1_21rocsparse_index_base_S6_S6_S8_PS9_SC_S6_S6_S8_SD_SC_SD_: ; @_ZN9rocsparseL25kernel_correction_no_normILi1024ELi32E21rocsparse_complex_numIdEiiEEvT3_T2_PKS4_S6_PKS3_PKT1_21rocsparse_index_base_S6_S6_S8_PS9_SC_S6_S6_S8_SD_SC_SD_
; %bb.0:
	s_load_dword s7, s[4:5], 0x0
	v_lshrrev_b32_e32 v1, 5, v0
	s_lshl_b32 s6, s6, 10
	s_mov_b32 s0, exec_lo
	v_or_b32_e32 v1, s6, v1
	s_waitcnt lgkmcnt(0)
	v_cmpx_gt_i32_e64 s7, v1
	s_cbranch_execz .LBB47_51
; %bb.1:
	s_addk_i32 s6, 0x400
	v_cmp_gt_u32_e32 vcc_lo, s6, v1
	s_and_b32 exec_lo, exec_lo, vcc_lo
	s_cbranch_execz .LBB47_51
; %bb.2:
	s_clause 0x6
	s_load_dword s33, s[4:5], 0x28
	s_load_dwordx8 s[8:15], s[4:5], 0x58
	s_load_dwordx8 s[16:23], s[4:5], 0x30
	;; [unrolled: 1-line block ×3, first 2 shown]
	s_load_dword s34, s[4:5], 0x50
	s_load_dwordx2 s[2:3], s[4:5], 0x80
	s_load_dword s4, s[4:5], 0x78
	v_and_b32_e32 v0, 31, v0
	v_mov_b32_e32 v3, 0
	s_mov_b32 s5, 0
	s_waitcnt lgkmcnt(0)
	v_subrev_nc_u32_e32 v0, s33, v0
	s_branch .LBB47_4
.LBB47_3:                               ;   in Loop: Header=BB47_4 Depth=1
	s_or_b32 exec_lo, exec_lo, s35
	v_add_nc_u32_e32 v1, 32, v1
	v_cmp_le_u32_e32 vcc_lo, s6, v1
	s_or_b32 s5, vcc_lo, s5
	s_andn2_b32 exec_lo, exec_lo, s5
	s_cbranch_execz .LBB47_51
.LBB47_4:                               ; =>This Loop Header: Depth=1
                                        ;     Child Loop BB47_8 Depth 2
                                        ;       Child Loop BB47_12 Depth 3
                                        ;       Child Loop BB47_34 Depth 3
	;; [unrolled: 1-line block ×3, first 2 shown]
	s_mov_b32 s35, exec_lo
	v_cmpx_gt_i32_e64 s7, v1
	s_cbranch_execz .LBB47_3
; %bb.5:                                ;   in Loop: Header=BB47_4 Depth=1
	v_ashrrev_i32_e32 v2, 31, v1
	v_lshlrev_b64 v[5:6], 2, v[1:2]
	v_add_co_u32 v7, vcc_lo, s24, v5
	v_add_co_ci_u32_e64 v8, null, s25, v6, vcc_lo
	v_add_co_u32 v9, vcc_lo, s26, v5
	v_add_co_ci_u32_e64 v10, null, s27, v6, vcc_lo
	global_load_dword v2, v[7:8], off
	global_load_dword v7, v[9:10], off
	s_waitcnt vmcnt(1)
	v_add_nc_u32_e32 v4, v0, v2
	s_waitcnt vmcnt(0)
	v_subrev_nc_u32_e32 v21, s33, v7
	v_cmp_lt_i32_e32 vcc_lo, v4, v21
	s_and_b32 exec_lo, exec_lo, vcc_lo
	s_cbranch_execz .LBB47_3
; %bb.6:                                ;   in Loop: Header=BB47_4 Depth=1
	v_add_co_u32 v7, vcc_lo, s16, v5
	v_add_co_ci_u32_e64 v8, null, s17, v6, vcc_lo
	v_add_co_u32 v5, vcc_lo, s18, v5
	v_add_co_ci_u32_e64 v6, null, s19, v6, vcc_lo
	global_load_dword v2, v[7:8], off
	s_mov_b32 s36, 0
	global_load_dword v5, v[5:6], off
	s_waitcnt vmcnt(1)
	v_subrev_nc_u32_e32 v6, s34, v2
	s_waitcnt vmcnt(0)
	v_sub_nc_u32_e32 v22, v5, v2
	v_ashrrev_i32_e32 v7, 31, v6
	v_cmp_lt_i32_e64 s0, 0, v22
	v_lshlrev_b64 v[8:9], 2, v[6:7]
	v_lshlrev_b64 v[10:11], 4, v[6:7]
	v_add_co_u32 v23, vcc_lo, s20, v8
	v_add_co_ci_u32_e64 v24, null, s21, v9, vcc_lo
	v_add_co_u32 v25, vcc_lo, s22, v10
	v_add_co_ci_u32_e64 v26, null, s23, v11, vcc_lo
	s_branch .LBB47_8
.LBB47_7:                               ;   in Loop: Header=BB47_8 Depth=2
	s_or_b32 exec_lo, exec_lo, s37
	v_add_nc_u32_e32 v4, 32, v4
	v_cmp_ge_i32_e32 vcc_lo, v4, v21
	s_or_b32 s36, vcc_lo, s36
	s_andn2_b32 exec_lo, exec_lo, s36
	s_cbranch_execz .LBB47_3
.LBB47_8:                               ;   Parent Loop BB47_4 Depth=1
                                        ; =>  This Loop Header: Depth=2
                                        ;       Child Loop BB47_12 Depth 3
                                        ;       Child Loop BB47_34 Depth 3
	;; [unrolled: 1-line block ×3, first 2 shown]
	v_ashrrev_i32_e32 v5, 31, v4
	v_mov_b32_e32 v15, 0
	v_mov_b32_e32 v16, 0
	v_lshlrev_b64 v[7:8], 2, v[4:5]
	v_add_co_u32 v7, vcc_lo, s28, v7
	v_add_co_ci_u32_e64 v8, null, s29, v8, vcc_lo
	global_load_dword v2, v[7:8], off
	s_waitcnt vmcnt(0)
	v_subrev_nc_u32_e32 v7, s33, v2
	v_mov_b32_e32 v2, 0
	v_ashrrev_i32_e32 v8, 31, v7
	v_lshlrev_b64 v[9:10], 2, v[7:8]
	v_add_co_u32 v11, vcc_lo, s8, v9
	v_add_co_ci_u32_e64 v12, null, s9, v10, vcc_lo
	v_add_co_u32 v9, vcc_lo, s10, v9
	v_add_co_ci_u32_e64 v10, null, s11, v10, vcc_lo
	global_load_dword v12, v[11:12], off
	global_load_dword v13, v[9:10], off
	v_mov_b32_e32 v9, 0
	v_mov_b32_e32 v10, 0
	s_waitcnt vmcnt(1)
	v_subrev_nc_u32_e32 v11, s4, v12
	s_waitcnt vmcnt(0)
	v_sub_nc_u32_e32 v27, v13, v12
	v_mov_b32_e32 v12, v2
	s_and_saveexec_b32 s37, s0
	s_cbranch_execz .LBB47_16
; %bb.9:                                ;   in Loop: Header=BB47_8 Depth=2
	v_ashrrev_i32_e32 v12, 31, v11
	v_mov_b32_e32 v9, 0
	v_mov_b32_e32 v10, 0
	;; [unrolled: 1-line block ×3, first 2 shown]
	s_mov_b32 s38, 0
	v_lshlrev_b64 v[14:15], 2, v[11:12]
	v_lshlrev_b64 v[12:13], 4, v[11:12]
                                        ; implicit-def: $sgpr39
	v_add_co_u32 v14, vcc_lo, s12, v14
	v_add_co_ci_u32_e64 v17, null, s13, v15, vcc_lo
	v_add_co_u32 v18, vcc_lo, s14, v12
	v_mov_b32_e32 v15, 0
	v_add_co_ci_u32_e64 v19, null, s15, v13, vcc_lo
	v_mov_b32_e32 v12, 0
	v_mov_b32_e32 v16, 0
	s_branch .LBB47_12
.LBB47_10:                              ;   in Loop: Header=BB47_12 Depth=3
	s_or_b32 exec_lo, exec_lo, s1
	v_cmp_le_i32_e32 vcc_lo, v20, v28
	v_cmp_ge_i32_e64 s1, v20, v28
	v_add_co_ci_u32_e64 v2, null, 0, v2, vcc_lo
	v_add_co_ci_u32_e64 v12, null, 0, v12, s1
	s_andn2_b32 s1, s39, exec_lo
	v_cmp_ge_i32_e32 vcc_lo, v2, v22
	s_and_b32 s39, vcc_lo, exec_lo
	s_or_b32 s39, s1, s39
.LBB47_11:                              ;   in Loop: Header=BB47_12 Depth=3
	s_or_b32 exec_lo, exec_lo, s40
	s_and_b32 s1, exec_lo, s39
	s_or_b32 s38, s1, s38
	s_andn2_b32 exec_lo, exec_lo, s38
	s_cbranch_execz .LBB47_15
.LBB47_12:                              ;   Parent Loop BB47_4 Depth=1
                                        ;     Parent Loop BB47_8 Depth=2
                                        ; =>    This Inner Loop Header: Depth=3
	s_or_b32 s39, s39, exec_lo
	s_mov_b32 s40, exec_lo
	v_cmpx_lt_i32_e64 v12, v27
	s_cbranch_execz .LBB47_11
; %bb.13:                               ;   in Loop: Header=BB47_12 Depth=3
	v_mov_b32_e32 v13, v3
	v_lshlrev_b64 v[28:29], 2, v[2:3]
	s_mov_b32 s1, exec_lo
	v_lshlrev_b64 v[30:31], 2, v[12:13]
	v_add_co_u32 v28, vcc_lo, v23, v28
	v_add_co_ci_u32_e64 v29, null, v24, v29, vcc_lo
	v_add_co_u32 v30, vcc_lo, v14, v30
	v_add_co_ci_u32_e64 v31, null, v17, v31, vcc_lo
	global_load_dword v20, v[28:29], off
	global_load_dword v28, v[30:31], off
	s_waitcnt vmcnt(1)
	v_subrev_nc_u32_e32 v20, s34, v20
	s_waitcnt vmcnt(0)
	v_subrev_nc_u32_e32 v28, s4, v28
	v_cmpx_eq_u32_e64 v20, v28
	s_cbranch_execz .LBB47_10
; %bb.14:                               ;   in Loop: Header=BB47_12 Depth=3
	v_lshlrev_b64 v[29:30], 4, v[2:3]
	v_lshlrev_b64 v[31:32], 4, v[12:13]
	v_add_co_u32 v29, vcc_lo, v25, v29
	v_add_co_ci_u32_e64 v30, null, v26, v30, vcc_lo
	v_add_co_u32 v33, vcc_lo, v18, v31
	v_add_co_ci_u32_e64 v34, null, v19, v32, vcc_lo
	global_load_dwordx4 v[29:32], v[29:30], off
	global_load_dwordx4 v[33:36], v[33:34], off
	s_waitcnt vmcnt(0)
	v_fma_f64 v[9:10], v[29:30], v[33:34], v[9:10]
	v_fma_f64 v[15:16], v[31:32], v[33:34], v[15:16]
	v_fma_f64 v[9:10], -v[31:32], v[35:36], v[9:10]
	v_fma_f64 v[15:16], v[29:30], v[35:36], v[15:16]
	s_branch .LBB47_10
.LBB47_15:                              ;   in Loop: Header=BB47_8 Depth=2
	s_or_b32 exec_lo, exec_lo, s38
.LBB47_16:                              ;   in Loop: Header=BB47_8 Depth=2
	s_or_b32 exec_lo, exec_lo, s37
	v_lshlrev_b64 v[13:14], 4, v[4:5]
	v_cmp_le_i32_e64 s1, v1, v7
	s_mov_b32 s37, exec_lo
	v_add_co_u32 v13, vcc_lo, s30, v13
	v_add_co_ci_u32_e64 v14, null, s31, v14, vcc_lo
	global_load_dwordx4 v[17:20], v[13:14], off
	s_waitcnt vmcnt(0)
	v_add_f64 v[13:14], v[17:18], -v[9:10]
	v_add_f64 v[9:10], v[19:20], -v[15:16]
	v_cmpx_gt_i32_e64 v1, v7
	s_cbranch_execz .LBB47_18
; %bb.17:                               ;   in Loop: Header=BB47_8 Depth=2
	v_lshlrev_b64 v[15:16], 4, v[7:8]
	v_add_co_u32 v15, vcc_lo, s2, v15
	v_add_co_ci_u32_e64 v16, null, s3, v16, vcc_lo
	global_load_dwordx4 v[15:18], v[15:16], off
	s_waitcnt vmcnt(0)
	v_mul_f64 v[19:20], v[17:18], v[17:18]
	v_fma_f64 v[19:20], v[15:16], v[15:16], v[19:20]
	v_div_scale_f64 v[28:29], null, v[19:20], v[19:20], 1.0
	v_div_scale_f64 v[34:35], vcc_lo, 1.0, v[19:20], 1.0
	v_rcp_f64_e32 v[30:31], v[28:29]
	v_fma_f64 v[32:33], -v[28:29], v[30:31], 1.0
	v_fma_f64 v[30:31], v[30:31], v[32:33], v[30:31]
	v_fma_f64 v[32:33], -v[28:29], v[30:31], 1.0
	v_fma_f64 v[30:31], v[30:31], v[32:33], v[30:31]
	v_mul_f64 v[32:33], v[34:35], v[30:31]
	v_fma_f64 v[28:29], -v[28:29], v[32:33], v[34:35]
	v_div_fmas_f64 v[28:29], v[28:29], v[30:31], v[32:33]
	v_mul_f64 v[30:31], v[9:10], v[17:18]
	v_mul_f64 v[17:18], v[17:18], -v[13:14]
	v_div_fixup_f64 v[19:20], v[28:29], v[19:20], 1.0
	v_fma_f64 v[13:14], v[13:14], v[15:16], v[30:31]
	v_fma_f64 v[9:10], v[9:10], v[15:16], v[17:18]
	v_mul_f64 v[13:14], v[13:14], v[19:20]
	v_mul_f64 v[9:10], v[9:10], v[19:20]
.LBB47_18:                              ;   in Loop: Header=BB47_8 Depth=2
	s_or_b32 exec_lo, exec_lo, s37
	v_cmp_gt_f64_e32 vcc_lo, 0, v[13:14]
	v_xor_b32_e32 v5, 0x80000000, v14
	v_xor_b32_e32 v17, 0x80000000, v10
	v_mov_b32_e32 v15, v13
	s_mov_b32 s37, exec_lo
                                        ; implicit-def: $vgpr19_vgpr20
	v_cndmask_b32_e32 v16, v14, v5, vcc_lo
	v_cmp_gt_f64_e32 vcc_lo, 0, v[9:10]
	v_cndmask_b32_e32 v18, v10, v17, vcc_lo
	v_mov_b32_e32 v17, v9
	v_cmpx_ngt_f64_e32 v[15:16], v[17:18]
	s_xor_b32 s37, exec_lo, s37
	s_cbranch_execnz .LBB47_21
; %bb.19:                               ;   in Loop: Header=BB47_8 Depth=2
	s_andn2_saveexec_b32 s37, s37
	s_cbranch_execnz .LBB47_24
.LBB47_20:                              ;   in Loop: Header=BB47_8 Depth=2
	s_or_b32 exec_lo, exec_lo, s37
	v_cmp_class_f64_e64 s38, v[19:20], 0x1f8
	s_and_saveexec_b32 s37, s38
	s_cbranch_execz .LBB47_7
	s_branch .LBB47_25
.LBB47_21:                              ;   in Loop: Header=BB47_8 Depth=2
	v_mov_b32_e32 v19, 0
	v_mov_b32_e32 v20, 0
	s_mov_b32 s38, exec_lo
	v_cmpx_neq_f64_e32 0, v[9:10]
	s_cbranch_execz .LBB47_23
; %bb.22:                               ;   in Loop: Header=BB47_8 Depth=2
	v_div_scale_f64 v[19:20], null, v[17:18], v[17:18], v[15:16]
	v_div_scale_f64 v[32:33], vcc_lo, v[15:16], v[17:18], v[15:16]
	v_rcp_f64_e32 v[28:29], v[19:20]
	v_fma_f64 v[30:31], -v[19:20], v[28:29], 1.0
	v_fma_f64 v[28:29], v[28:29], v[30:31], v[28:29]
	v_fma_f64 v[30:31], -v[19:20], v[28:29], 1.0
	v_fma_f64 v[28:29], v[28:29], v[30:31], v[28:29]
	v_mul_f64 v[30:31], v[32:33], v[28:29]
	v_fma_f64 v[19:20], -v[19:20], v[30:31], v[32:33]
	v_div_fmas_f64 v[19:20], v[19:20], v[28:29], v[30:31]
	v_div_fixup_f64 v[15:16], v[19:20], v[17:18], v[15:16]
	v_fma_f64 v[15:16], v[15:16], v[15:16], 1.0
	v_cmp_gt_f64_e32 vcc_lo, 0x10000000, v[15:16]
	v_cndmask_b32_e64 v5, 0, 0x100, vcc_lo
	v_ldexp_f64 v[15:16], v[15:16], v5
	v_cndmask_b32_e64 v5, 0, 0xffffff80, vcc_lo
	v_rsq_f64_e32 v[19:20], v[15:16]
	v_cmp_class_f64_e64 vcc_lo, v[15:16], 0x260
	v_mul_f64 v[28:29], v[15:16], v[19:20]
	v_mul_f64 v[19:20], v[19:20], 0.5
	v_fma_f64 v[30:31], -v[19:20], v[28:29], 0.5
	v_fma_f64 v[28:29], v[28:29], v[30:31], v[28:29]
	v_fma_f64 v[19:20], v[19:20], v[30:31], v[19:20]
	v_fma_f64 v[30:31], -v[28:29], v[28:29], v[15:16]
	v_fma_f64 v[28:29], v[30:31], v[19:20], v[28:29]
	v_fma_f64 v[30:31], -v[28:29], v[28:29], v[15:16]
	v_fma_f64 v[19:20], v[30:31], v[19:20], v[28:29]
	v_ldexp_f64 v[19:20], v[19:20], v5
	v_cndmask_b32_e32 v16, v20, v16, vcc_lo
	v_cndmask_b32_e32 v15, v19, v15, vcc_lo
	v_mul_f64 v[19:20], v[17:18], v[15:16]
.LBB47_23:                              ;   in Loop: Header=BB47_8 Depth=2
	s_or_b32 exec_lo, exec_lo, s38
                                        ; implicit-def: $vgpr15_vgpr16
                                        ; implicit-def: $vgpr17_vgpr18
	s_andn2_saveexec_b32 s37, s37
	s_cbranch_execz .LBB47_20
.LBB47_24:                              ;   in Loop: Header=BB47_8 Depth=2
	v_div_scale_f64 v[19:20], null, v[15:16], v[15:16], v[17:18]
	v_div_scale_f64 v[32:33], vcc_lo, v[17:18], v[15:16], v[17:18]
	v_rcp_f64_e32 v[28:29], v[19:20]
	v_fma_f64 v[30:31], -v[19:20], v[28:29], 1.0
	v_fma_f64 v[28:29], v[28:29], v[30:31], v[28:29]
	v_fma_f64 v[30:31], -v[19:20], v[28:29], 1.0
	v_fma_f64 v[28:29], v[28:29], v[30:31], v[28:29]
	v_mul_f64 v[30:31], v[32:33], v[28:29]
	v_fma_f64 v[19:20], -v[19:20], v[30:31], v[32:33]
	v_div_fmas_f64 v[19:20], v[19:20], v[28:29], v[30:31]
	v_div_fixup_f64 v[17:18], v[19:20], v[15:16], v[17:18]
	v_fma_f64 v[17:18], v[17:18], v[17:18], 1.0
	v_cmp_gt_f64_e32 vcc_lo, 0x10000000, v[17:18]
	v_cndmask_b32_e64 v5, 0, 0x100, vcc_lo
	v_ldexp_f64 v[17:18], v[17:18], v5
	v_cndmask_b32_e64 v5, 0, 0xffffff80, vcc_lo
	v_rsq_f64_e32 v[19:20], v[17:18]
	v_cmp_class_f64_e64 vcc_lo, v[17:18], 0x260
	v_mul_f64 v[28:29], v[17:18], v[19:20]
	v_mul_f64 v[19:20], v[19:20], 0.5
	v_fma_f64 v[30:31], -v[19:20], v[28:29], 0.5
	v_fma_f64 v[28:29], v[28:29], v[30:31], v[28:29]
	v_fma_f64 v[19:20], v[19:20], v[30:31], v[19:20]
	v_fma_f64 v[30:31], -v[28:29], v[28:29], v[17:18]
	v_fma_f64 v[28:29], v[30:31], v[19:20], v[28:29]
	v_fma_f64 v[30:31], -v[28:29], v[28:29], v[17:18]
	v_fma_f64 v[19:20], v[30:31], v[19:20], v[28:29]
	v_ldexp_f64 v[19:20], v[19:20], v5
	v_cndmask_b32_e32 v18, v20, v18, vcc_lo
	v_cndmask_b32_e32 v17, v19, v17, vcc_lo
	v_mul_f64 v[19:20], v[15:16], v[17:18]
	s_or_b32 exec_lo, exec_lo, s37
	v_cmp_class_f64_e64 s38, v[19:20], 0x1f8
	s_and_saveexec_b32 s37, s38
	s_cbranch_execz .LBB47_7
.LBB47_25:                              ;   in Loop: Header=BB47_8 Depth=2
	s_mov_b32 s38, 0
                                        ; implicit-def: $vgpr15_vgpr16
	s_and_saveexec_b32 s39, s1
	s_xor_b32 s1, exec_lo, s39
	s_cbranch_execnz .LBB47_28
; %bb.26:                               ;   in Loop: Header=BB47_8 Depth=2
	s_andn2_saveexec_b32 s1, s1
	s_cbranch_execnz .LBB47_41
.LBB47_27:                              ;   in Loop: Header=BB47_8 Depth=2
	s_or_b32 exec_lo, exec_lo, s1
	s_and_b32 exec_lo, exec_lo, s38
	s_cbranch_execz .LBB47_7
	s_branch .LBB47_50
.LBB47_28:                              ;   in Loop: Header=BB47_8 Depth=2
	s_mov_b32 s39, exec_lo
                                        ; implicit-def: $vgpr15_vgpr16
	v_cmpx_ge_i32_e64 v1, v7
	s_xor_b32 s39, exec_lo, s39
	s_cbranch_execz .LBB47_30
; %bb.29:                               ;   in Loop: Header=BB47_8 Depth=2
	v_lshlrev_b64 v[7:8], 4, v[7:8]
	s_mov_b32 s38, exec_lo
                                        ; implicit-def: $vgpr12
                                        ; implicit-def: $vgpr27
                                        ; implicit-def: $vgpr11
	v_add_co_u32 v15, vcc_lo, s2, v7
	v_add_co_ci_u32_e64 v16, null, s3, v8, vcc_lo
	global_store_dwordx2 v[15:16], v[13:14], off
                                        ; implicit-def: $vgpr13_vgpr14
.LBB47_30:                              ;   in Loop: Header=BB47_8 Depth=2
	s_andn2_saveexec_b32 s39, s39
	s_cbranch_execz .LBB47_40
; %bb.31:                               ;   in Loop: Header=BB47_8 Depth=2
	s_mov_b32 s41, s38
	s_mov_b32 s40, exec_lo
                                        ; implicit-def: $vgpr15_vgpr16
	v_cmpx_lt_i32_e64 v12, v27
	s_cbranch_execz .LBB47_39
; %bb.32:                               ;   in Loop: Header=BB47_8 Depth=2
	s_mov_b32 s42, 0
                                        ; implicit-def: $sgpr41
                                        ; implicit-def: $sgpr44
                                        ; implicit-def: $sgpr43
	s_inst_prefetch 0x1
	s_branch .LBB47_34
	.p2align	6
.LBB47_33:                              ;   in Loop: Header=BB47_34 Depth=3
	s_or_b32 exec_lo, exec_lo, s45
	s_and_b32 s45, exec_lo, s44
	s_or_b32 s42, s45, s42
	s_andn2_b32 s41, s41, exec_lo
	s_and_b32 s45, s43, exec_lo
	s_or_b32 s41, s41, s45
	s_andn2_b32 exec_lo, exec_lo, s42
	s_cbranch_execz .LBB47_36
.LBB47_34:                              ;   Parent Loop BB47_4 Depth=1
                                        ;     Parent Loop BB47_8 Depth=2
                                        ; =>    This Inner Loop Header: Depth=3
	v_add_nc_u32_e32 v7, v11, v12
	s_or_b32 s43, s43, exec_lo
	s_or_b32 s44, s44, exec_lo
	s_mov_b32 s45, exec_lo
	v_ashrrev_i32_e32 v8, 31, v7
	v_lshlrev_b64 v[15:16], 2, v[7:8]
	v_add_co_u32 v15, vcc_lo, s12, v15
	v_add_co_ci_u32_e64 v16, null, s13, v16, vcc_lo
	global_load_dword v2, v[15:16], off
	s_waitcnt vmcnt(0)
	v_subrev_nc_u32_e32 v2, s4, v2
	v_cmpx_ne_u32_e64 v2, v1
	s_cbranch_execz .LBB47_33
; %bb.35:                               ;   in Loop: Header=BB47_34 Depth=3
	v_add_nc_u32_e32 v12, 1, v12
	s_andn2_b32 s44, s44, exec_lo
	s_andn2_b32 s43, s43, exec_lo
	v_cmp_ge_i32_e32 vcc_lo, v12, v27
	s_and_b32 s46, vcc_lo, exec_lo
	s_or_b32 s44, s44, s46
	s_branch .LBB47_33
.LBB47_36:                              ;   in Loop: Header=BB47_8 Depth=2
	s_inst_prefetch 0x2
	s_or_b32 exec_lo, exec_lo, s42
	s_mov_b32 s42, s38
                                        ; implicit-def: $vgpr15_vgpr16
	s_and_saveexec_b32 s43, s41
	s_xor_b32 s41, exec_lo, s43
	s_cbranch_execz .LBB47_38
; %bb.37:                               ;   in Loop: Header=BB47_8 Depth=2
	v_lshlrev_b64 v[7:8], 4, v[7:8]
	s_or_b32 s42, s38, exec_lo
	v_add_co_u32 v15, vcc_lo, s14, v7
	v_add_co_ci_u32_e64 v16, null, s15, v8, vcc_lo
	global_store_dwordx2 v[15:16], v[13:14], off
.LBB47_38:                              ;   in Loop: Header=BB47_8 Depth=2
	s_or_b32 exec_lo, exec_lo, s41
	s_andn2_b32 s41, s38, exec_lo
	s_and_b32 s42, s42, exec_lo
	s_or_b32 s41, s41, s42
.LBB47_39:                              ;   in Loop: Header=BB47_8 Depth=2
	s_or_b32 exec_lo, exec_lo, s40
	s_andn2_b32 s38, s38, exec_lo
	s_and_b32 s40, s41, exec_lo
	s_or_b32 s38, s38, s40
.LBB47_40:                              ;   in Loop: Header=BB47_8 Depth=2
	s_or_b32 exec_lo, exec_lo, s39
	s_and_b32 s38, s38, exec_lo
                                        ; implicit-def: $vgpr13_vgpr14
                                        ; implicit-def: $vgpr7_vgpr8
	s_andn2_saveexec_b32 s1, s1
	s_cbranch_execz .LBB47_27
.LBB47_41:                              ;   in Loop: Header=BB47_8 Depth=2
	s_mov_b32 s40, s38
	s_mov_b32 s39, exec_lo
                                        ; implicit-def: $vgpr15_vgpr16
	v_cmpx_lt_i32_e64 v2, v22
	s_cbranch_execz .LBB47_49
; %bb.42:                               ;   in Loop: Header=BB47_8 Depth=2
	s_mov_b32 s41, 0
                                        ; implicit-def: $sgpr40
                                        ; implicit-def: $sgpr43
                                        ; implicit-def: $sgpr42
	s_inst_prefetch 0x1
	s_branch .LBB47_44
	.p2align	6
.LBB47_43:                              ;   in Loop: Header=BB47_44 Depth=3
	s_or_b32 exec_lo, exec_lo, s44
	s_and_b32 s44, exec_lo, s43
	s_or_b32 s41, s44, s41
	s_andn2_b32 s40, s40, exec_lo
	s_and_b32 s44, s42, exec_lo
	s_or_b32 s40, s40, s44
	s_andn2_b32 exec_lo, exec_lo, s41
	s_cbranch_execz .LBB47_46
.LBB47_44:                              ;   Parent Loop BB47_4 Depth=1
                                        ;     Parent Loop BB47_8 Depth=2
                                        ; =>    This Inner Loop Header: Depth=3
	v_add_nc_u32_e32 v11, v6, v2
	s_or_b32 s42, s42, exec_lo
	s_or_b32 s43, s43, exec_lo
	s_mov_b32 s44, exec_lo
	v_ashrrev_i32_e32 v12, 31, v11
	v_lshlrev_b64 v[15:16], 2, v[11:12]
	v_add_co_u32 v15, vcc_lo, s20, v15
	v_add_co_ci_u32_e64 v16, null, s21, v16, vcc_lo
	global_load_dword v5, v[15:16], off
	s_waitcnt vmcnt(0)
	v_subrev_nc_u32_e32 v5, s34, v5
	v_cmpx_ne_u32_e64 v5, v7
	s_cbranch_execz .LBB47_43
; %bb.45:                               ;   in Loop: Header=BB47_44 Depth=3
	v_add_nc_u32_e32 v2, 1, v2
	s_andn2_b32 s43, s43, exec_lo
	s_andn2_b32 s42, s42, exec_lo
	v_cmp_ge_i32_e32 vcc_lo, v2, v22
	s_and_b32 s45, vcc_lo, exec_lo
	s_or_b32 s43, s43, s45
	s_branch .LBB47_43
.LBB47_46:                              ;   in Loop: Header=BB47_8 Depth=2
	s_inst_prefetch 0x2
	s_or_b32 exec_lo, exec_lo, s41
	s_mov_b32 s41, s38
                                        ; implicit-def: $vgpr15_vgpr16
	s_and_saveexec_b32 s42, s40
	s_xor_b32 s40, exec_lo, s42
	s_cbranch_execz .LBB47_48
; %bb.47:                               ;   in Loop: Header=BB47_8 Depth=2
	v_lshlrev_b64 v[7:8], 4, v[11:12]
	s_or_b32 s41, s38, exec_lo
	v_add_co_u32 v15, vcc_lo, s22, v7
	v_add_co_ci_u32_e64 v16, null, s23, v8, vcc_lo
	global_store_dwordx2 v[15:16], v[13:14], off
.LBB47_48:                              ;   in Loop: Header=BB47_8 Depth=2
	s_or_b32 exec_lo, exec_lo, s40
	s_andn2_b32 s40, s38, exec_lo
	s_and_b32 s41, s41, exec_lo
	s_or_b32 s40, s40, s41
.LBB47_49:                              ;   in Loop: Header=BB47_8 Depth=2
	s_or_b32 exec_lo, exec_lo, s39
	s_andn2_b32 s38, s38, exec_lo
	s_and_b32 s39, s40, exec_lo
	s_or_b32 s38, s38, s39
	s_or_b32 exec_lo, exec_lo, s1
	s_and_b32 exec_lo, exec_lo, s38
	s_cbranch_execz .LBB47_7
.LBB47_50:                              ;   in Loop: Header=BB47_8 Depth=2
	global_store_dwordx2 v[15:16], v[9:10], off offset:8
	s_branch .LBB47_7
.LBB47_51:
	s_endpgm
	.section	.rodata,"a",@progbits
	.p2align	6, 0x0
	.amdhsa_kernel _ZN9rocsparseL25kernel_correction_no_normILi1024ELi32E21rocsparse_complex_numIdEiiEEvT3_T2_PKS4_S6_PKS3_PKT1_21rocsparse_index_base_S6_S6_S8_PS9_SC_S6_S6_S8_SD_SC_SD_
		.amdhsa_group_segment_fixed_size 0
		.amdhsa_private_segment_fixed_size 0
		.amdhsa_kernarg_size 136
		.amdhsa_user_sgpr_count 6
		.amdhsa_user_sgpr_private_segment_buffer 1
		.amdhsa_user_sgpr_dispatch_ptr 0
		.amdhsa_user_sgpr_queue_ptr 0
		.amdhsa_user_sgpr_kernarg_segment_ptr 1
		.amdhsa_user_sgpr_dispatch_id 0
		.amdhsa_user_sgpr_flat_scratch_init 0
		.amdhsa_user_sgpr_private_segment_size 0
		.amdhsa_wavefront_size32 1
		.amdhsa_uses_dynamic_stack 0
		.amdhsa_system_sgpr_private_segment_wavefront_offset 0
		.amdhsa_system_sgpr_workgroup_id_x 1
		.amdhsa_system_sgpr_workgroup_id_y 0
		.amdhsa_system_sgpr_workgroup_id_z 0
		.amdhsa_system_sgpr_workgroup_info 0
		.amdhsa_system_vgpr_workitem_id 0
		.amdhsa_next_free_vgpr 37
		.amdhsa_next_free_sgpr 47
		.amdhsa_reserve_vcc 1
		.amdhsa_reserve_flat_scratch 0
		.amdhsa_float_round_mode_32 0
		.amdhsa_float_round_mode_16_64 0
		.amdhsa_float_denorm_mode_32 3
		.amdhsa_float_denorm_mode_16_64 3
		.amdhsa_dx10_clamp 1
		.amdhsa_ieee_mode 1
		.amdhsa_fp16_overflow 0
		.amdhsa_workgroup_processor_mode 1
		.amdhsa_memory_ordered 1
		.amdhsa_forward_progress 1
		.amdhsa_shared_vgpr_count 0
		.amdhsa_exception_fp_ieee_invalid_op 0
		.amdhsa_exception_fp_denorm_src 0
		.amdhsa_exception_fp_ieee_div_zero 0
		.amdhsa_exception_fp_ieee_overflow 0
		.amdhsa_exception_fp_ieee_underflow 0
		.amdhsa_exception_fp_ieee_inexact 0
		.amdhsa_exception_int_div_zero 0
	.end_amdhsa_kernel
	.section	.text._ZN9rocsparseL25kernel_correction_no_normILi1024ELi32E21rocsparse_complex_numIdEiiEEvT3_T2_PKS4_S6_PKS3_PKT1_21rocsparse_index_base_S6_S6_S8_PS9_SC_S6_S6_S8_SD_SC_SD_,"axG",@progbits,_ZN9rocsparseL25kernel_correction_no_normILi1024ELi32E21rocsparse_complex_numIdEiiEEvT3_T2_PKS4_S6_PKS3_PKT1_21rocsparse_index_base_S6_S6_S8_PS9_SC_S6_S6_S8_SD_SC_SD_,comdat
.Lfunc_end47:
	.size	_ZN9rocsparseL25kernel_correction_no_normILi1024ELi32E21rocsparse_complex_numIdEiiEEvT3_T2_PKS4_S6_PKS3_PKT1_21rocsparse_index_base_S6_S6_S8_PS9_SC_S6_S6_S8_SD_SC_SD_, .Lfunc_end47-_ZN9rocsparseL25kernel_correction_no_normILi1024ELi32E21rocsparse_complex_numIdEiiEEvT3_T2_PKS4_S6_PKS3_PKT1_21rocsparse_index_base_S6_S6_S8_PS9_SC_S6_S6_S8_SD_SC_SD_
                                        ; -- End function
	.set _ZN9rocsparseL25kernel_correction_no_normILi1024ELi32E21rocsparse_complex_numIdEiiEEvT3_T2_PKS4_S6_PKS3_PKT1_21rocsparse_index_base_S6_S6_S8_PS9_SC_S6_S6_S8_SD_SC_SD_.num_vgpr, 37
	.set _ZN9rocsparseL25kernel_correction_no_normILi1024ELi32E21rocsparse_complex_numIdEiiEEvT3_T2_PKS4_S6_PKS3_PKT1_21rocsparse_index_base_S6_S6_S8_PS9_SC_S6_S6_S8_SD_SC_SD_.num_agpr, 0
	.set _ZN9rocsparseL25kernel_correction_no_normILi1024ELi32E21rocsparse_complex_numIdEiiEEvT3_T2_PKS4_S6_PKS3_PKT1_21rocsparse_index_base_S6_S6_S8_PS9_SC_S6_S6_S8_SD_SC_SD_.numbered_sgpr, 47
	.set _ZN9rocsparseL25kernel_correction_no_normILi1024ELi32E21rocsparse_complex_numIdEiiEEvT3_T2_PKS4_S6_PKS3_PKT1_21rocsparse_index_base_S6_S6_S8_PS9_SC_S6_S6_S8_SD_SC_SD_.num_named_barrier, 0
	.set _ZN9rocsparseL25kernel_correction_no_normILi1024ELi32E21rocsparse_complex_numIdEiiEEvT3_T2_PKS4_S6_PKS3_PKT1_21rocsparse_index_base_S6_S6_S8_PS9_SC_S6_S6_S8_SD_SC_SD_.private_seg_size, 0
	.set _ZN9rocsparseL25kernel_correction_no_normILi1024ELi32E21rocsparse_complex_numIdEiiEEvT3_T2_PKS4_S6_PKS3_PKT1_21rocsparse_index_base_S6_S6_S8_PS9_SC_S6_S6_S8_SD_SC_SD_.uses_vcc, 1
	.set _ZN9rocsparseL25kernel_correction_no_normILi1024ELi32E21rocsparse_complex_numIdEiiEEvT3_T2_PKS4_S6_PKS3_PKT1_21rocsparse_index_base_S6_S6_S8_PS9_SC_S6_S6_S8_SD_SC_SD_.uses_flat_scratch, 0
	.set _ZN9rocsparseL25kernel_correction_no_normILi1024ELi32E21rocsparse_complex_numIdEiiEEvT3_T2_PKS4_S6_PKS3_PKT1_21rocsparse_index_base_S6_S6_S8_PS9_SC_S6_S6_S8_SD_SC_SD_.has_dyn_sized_stack, 0
	.set _ZN9rocsparseL25kernel_correction_no_normILi1024ELi32E21rocsparse_complex_numIdEiiEEvT3_T2_PKS4_S6_PKS3_PKT1_21rocsparse_index_base_S6_S6_S8_PS9_SC_S6_S6_S8_SD_SC_SD_.has_recursion, 0
	.set _ZN9rocsparseL25kernel_correction_no_normILi1024ELi32E21rocsparse_complex_numIdEiiEEvT3_T2_PKS4_S6_PKS3_PKT1_21rocsparse_index_base_S6_S6_S8_PS9_SC_S6_S6_S8_SD_SC_SD_.has_indirect_call, 0
	.section	.AMDGPU.csdata,"",@progbits
; Kernel info:
; codeLenInByte = 2620
; TotalNumSgprs: 49
; NumVgprs: 37
; ScratchSize: 0
; MemoryBound: 1
; FloatMode: 240
; IeeeMode: 1
; LDSByteSize: 0 bytes/workgroup (compile time only)
; SGPRBlocks: 0
; VGPRBlocks: 4
; NumSGPRsForWavesPerEU: 49
; NumVGPRsForWavesPerEU: 37
; Occupancy: 16
; WaveLimiterHint : 1
; COMPUTE_PGM_RSRC2:SCRATCH_EN: 0
; COMPUTE_PGM_RSRC2:USER_SGPR: 6
; COMPUTE_PGM_RSRC2:TRAP_HANDLER: 0
; COMPUTE_PGM_RSRC2:TGID_X_EN: 1
; COMPUTE_PGM_RSRC2:TGID_Y_EN: 0
; COMPUTE_PGM_RSRC2:TGID_Z_EN: 0
; COMPUTE_PGM_RSRC2:TIDIG_COMP_CNT: 0
	.section	.text._ZN9rocsparseL25kernel_correction_no_normILi1024ELi64E21rocsparse_complex_numIdEiiEEvT3_T2_PKS4_S6_PKS3_PKT1_21rocsparse_index_base_S6_S6_S8_PS9_SC_S6_S6_S8_SD_SC_SD_,"axG",@progbits,_ZN9rocsparseL25kernel_correction_no_normILi1024ELi64E21rocsparse_complex_numIdEiiEEvT3_T2_PKS4_S6_PKS3_PKT1_21rocsparse_index_base_S6_S6_S8_PS9_SC_S6_S6_S8_SD_SC_SD_,comdat
	.globl	_ZN9rocsparseL25kernel_correction_no_normILi1024ELi64E21rocsparse_complex_numIdEiiEEvT3_T2_PKS4_S6_PKS3_PKT1_21rocsparse_index_base_S6_S6_S8_PS9_SC_S6_S6_S8_SD_SC_SD_ ; -- Begin function _ZN9rocsparseL25kernel_correction_no_normILi1024ELi64E21rocsparse_complex_numIdEiiEEvT3_T2_PKS4_S6_PKS3_PKT1_21rocsparse_index_base_S6_S6_S8_PS9_SC_S6_S6_S8_SD_SC_SD_
	.p2align	8
	.type	_ZN9rocsparseL25kernel_correction_no_normILi1024ELi64E21rocsparse_complex_numIdEiiEEvT3_T2_PKS4_S6_PKS3_PKT1_21rocsparse_index_base_S6_S6_S8_PS9_SC_S6_S6_S8_SD_SC_SD_,@function
_ZN9rocsparseL25kernel_correction_no_normILi1024ELi64E21rocsparse_complex_numIdEiiEEvT3_T2_PKS4_S6_PKS3_PKT1_21rocsparse_index_base_S6_S6_S8_PS9_SC_S6_S6_S8_SD_SC_SD_: ; @_ZN9rocsparseL25kernel_correction_no_normILi1024ELi64E21rocsparse_complex_numIdEiiEEvT3_T2_PKS4_S6_PKS3_PKT1_21rocsparse_index_base_S6_S6_S8_PS9_SC_S6_S6_S8_SD_SC_SD_
; %bb.0:
	s_load_dword s7, s[4:5], 0x0
	v_lshrrev_b32_e32 v1, 6, v0
	s_lshl_b32 s6, s6, 10
	s_mov_b32 s0, exec_lo
	v_or_b32_e32 v1, s6, v1
	s_waitcnt lgkmcnt(0)
	v_cmpx_gt_i32_e64 s7, v1
	s_cbranch_execz .LBB48_51
; %bb.1:
	s_addk_i32 s6, 0x400
	v_cmp_gt_u32_e32 vcc_lo, s6, v1
	s_and_b32 exec_lo, exec_lo, vcc_lo
	s_cbranch_execz .LBB48_51
; %bb.2:
	s_clause 0x6
	s_load_dword s33, s[4:5], 0x28
	s_load_dwordx8 s[8:15], s[4:5], 0x58
	s_load_dwordx8 s[16:23], s[4:5], 0x30
	;; [unrolled: 1-line block ×3, first 2 shown]
	s_load_dword s34, s[4:5], 0x50
	s_load_dwordx2 s[2:3], s[4:5], 0x80
	s_load_dword s4, s[4:5], 0x78
	v_and_b32_e32 v0, 63, v0
	v_mov_b32_e32 v3, 0
	s_mov_b32 s5, 0
	s_waitcnt lgkmcnt(0)
	v_subrev_nc_u32_e32 v0, s33, v0
	s_branch .LBB48_4
.LBB48_3:                               ;   in Loop: Header=BB48_4 Depth=1
	s_or_b32 exec_lo, exec_lo, s35
	v_add_nc_u32_e32 v1, 16, v1
	v_cmp_le_u32_e32 vcc_lo, s6, v1
	s_or_b32 s5, vcc_lo, s5
	s_andn2_b32 exec_lo, exec_lo, s5
	s_cbranch_execz .LBB48_51
.LBB48_4:                               ; =>This Loop Header: Depth=1
                                        ;     Child Loop BB48_8 Depth 2
                                        ;       Child Loop BB48_12 Depth 3
                                        ;       Child Loop BB48_34 Depth 3
	;; [unrolled: 1-line block ×3, first 2 shown]
	s_mov_b32 s35, exec_lo
	v_cmpx_gt_i32_e64 s7, v1
	s_cbranch_execz .LBB48_3
; %bb.5:                                ;   in Loop: Header=BB48_4 Depth=1
	v_ashrrev_i32_e32 v2, 31, v1
	v_lshlrev_b64 v[5:6], 2, v[1:2]
	v_add_co_u32 v7, vcc_lo, s24, v5
	v_add_co_ci_u32_e64 v8, null, s25, v6, vcc_lo
	v_add_co_u32 v9, vcc_lo, s26, v5
	v_add_co_ci_u32_e64 v10, null, s27, v6, vcc_lo
	global_load_dword v2, v[7:8], off
	global_load_dword v7, v[9:10], off
	s_waitcnt vmcnt(1)
	v_add_nc_u32_e32 v4, v0, v2
	s_waitcnt vmcnt(0)
	v_subrev_nc_u32_e32 v21, s33, v7
	v_cmp_lt_i32_e32 vcc_lo, v4, v21
	s_and_b32 exec_lo, exec_lo, vcc_lo
	s_cbranch_execz .LBB48_3
; %bb.6:                                ;   in Loop: Header=BB48_4 Depth=1
	v_add_co_u32 v7, vcc_lo, s16, v5
	v_add_co_ci_u32_e64 v8, null, s17, v6, vcc_lo
	v_add_co_u32 v5, vcc_lo, s18, v5
	v_add_co_ci_u32_e64 v6, null, s19, v6, vcc_lo
	global_load_dword v2, v[7:8], off
	s_mov_b32 s36, 0
	global_load_dword v5, v[5:6], off
	s_waitcnt vmcnt(1)
	v_subrev_nc_u32_e32 v6, s34, v2
	s_waitcnt vmcnt(0)
	v_sub_nc_u32_e32 v22, v5, v2
	v_ashrrev_i32_e32 v7, 31, v6
	v_cmp_lt_i32_e64 s0, 0, v22
	v_lshlrev_b64 v[8:9], 2, v[6:7]
	v_lshlrev_b64 v[10:11], 4, v[6:7]
	v_add_co_u32 v23, vcc_lo, s20, v8
	v_add_co_ci_u32_e64 v24, null, s21, v9, vcc_lo
	v_add_co_u32 v25, vcc_lo, s22, v10
	v_add_co_ci_u32_e64 v26, null, s23, v11, vcc_lo
	s_branch .LBB48_8
.LBB48_7:                               ;   in Loop: Header=BB48_8 Depth=2
	s_or_b32 exec_lo, exec_lo, s37
	v_add_nc_u32_e32 v4, 64, v4
	v_cmp_ge_i32_e32 vcc_lo, v4, v21
	s_or_b32 s36, vcc_lo, s36
	s_andn2_b32 exec_lo, exec_lo, s36
	s_cbranch_execz .LBB48_3
.LBB48_8:                               ;   Parent Loop BB48_4 Depth=1
                                        ; =>  This Loop Header: Depth=2
                                        ;       Child Loop BB48_12 Depth 3
                                        ;       Child Loop BB48_34 Depth 3
	;; [unrolled: 1-line block ×3, first 2 shown]
	v_ashrrev_i32_e32 v5, 31, v4
	v_mov_b32_e32 v15, 0
	v_mov_b32_e32 v16, 0
	v_lshlrev_b64 v[7:8], 2, v[4:5]
	v_add_co_u32 v7, vcc_lo, s28, v7
	v_add_co_ci_u32_e64 v8, null, s29, v8, vcc_lo
	global_load_dword v2, v[7:8], off
	s_waitcnt vmcnt(0)
	v_subrev_nc_u32_e32 v7, s33, v2
	v_mov_b32_e32 v2, 0
	v_ashrrev_i32_e32 v8, 31, v7
	v_lshlrev_b64 v[9:10], 2, v[7:8]
	v_add_co_u32 v11, vcc_lo, s8, v9
	v_add_co_ci_u32_e64 v12, null, s9, v10, vcc_lo
	v_add_co_u32 v9, vcc_lo, s10, v9
	v_add_co_ci_u32_e64 v10, null, s11, v10, vcc_lo
	global_load_dword v12, v[11:12], off
	global_load_dword v13, v[9:10], off
	v_mov_b32_e32 v9, 0
	v_mov_b32_e32 v10, 0
	s_waitcnt vmcnt(1)
	v_subrev_nc_u32_e32 v11, s4, v12
	s_waitcnt vmcnt(0)
	v_sub_nc_u32_e32 v27, v13, v12
	v_mov_b32_e32 v12, v2
	s_and_saveexec_b32 s37, s0
	s_cbranch_execz .LBB48_16
; %bb.9:                                ;   in Loop: Header=BB48_8 Depth=2
	v_ashrrev_i32_e32 v12, 31, v11
	v_mov_b32_e32 v9, 0
	v_mov_b32_e32 v10, 0
	;; [unrolled: 1-line block ×3, first 2 shown]
	s_mov_b32 s38, 0
	v_lshlrev_b64 v[14:15], 2, v[11:12]
	v_lshlrev_b64 v[12:13], 4, v[11:12]
                                        ; implicit-def: $sgpr39
	v_add_co_u32 v14, vcc_lo, s12, v14
	v_add_co_ci_u32_e64 v17, null, s13, v15, vcc_lo
	v_add_co_u32 v18, vcc_lo, s14, v12
	v_mov_b32_e32 v15, 0
	v_add_co_ci_u32_e64 v19, null, s15, v13, vcc_lo
	v_mov_b32_e32 v12, 0
	v_mov_b32_e32 v16, 0
	s_branch .LBB48_12
.LBB48_10:                              ;   in Loop: Header=BB48_12 Depth=3
	s_or_b32 exec_lo, exec_lo, s1
	v_cmp_le_i32_e32 vcc_lo, v20, v28
	v_cmp_ge_i32_e64 s1, v20, v28
	v_add_co_ci_u32_e64 v2, null, 0, v2, vcc_lo
	v_add_co_ci_u32_e64 v12, null, 0, v12, s1
	s_andn2_b32 s1, s39, exec_lo
	v_cmp_ge_i32_e32 vcc_lo, v2, v22
	s_and_b32 s39, vcc_lo, exec_lo
	s_or_b32 s39, s1, s39
.LBB48_11:                              ;   in Loop: Header=BB48_12 Depth=3
	s_or_b32 exec_lo, exec_lo, s40
	s_and_b32 s1, exec_lo, s39
	s_or_b32 s38, s1, s38
	s_andn2_b32 exec_lo, exec_lo, s38
	s_cbranch_execz .LBB48_15
.LBB48_12:                              ;   Parent Loop BB48_4 Depth=1
                                        ;     Parent Loop BB48_8 Depth=2
                                        ; =>    This Inner Loop Header: Depth=3
	s_or_b32 s39, s39, exec_lo
	s_mov_b32 s40, exec_lo
	v_cmpx_lt_i32_e64 v12, v27
	s_cbranch_execz .LBB48_11
; %bb.13:                               ;   in Loop: Header=BB48_12 Depth=3
	v_mov_b32_e32 v13, v3
	v_lshlrev_b64 v[28:29], 2, v[2:3]
	s_mov_b32 s1, exec_lo
	v_lshlrev_b64 v[30:31], 2, v[12:13]
	v_add_co_u32 v28, vcc_lo, v23, v28
	v_add_co_ci_u32_e64 v29, null, v24, v29, vcc_lo
	v_add_co_u32 v30, vcc_lo, v14, v30
	v_add_co_ci_u32_e64 v31, null, v17, v31, vcc_lo
	global_load_dword v20, v[28:29], off
	global_load_dword v28, v[30:31], off
	s_waitcnt vmcnt(1)
	v_subrev_nc_u32_e32 v20, s34, v20
	s_waitcnt vmcnt(0)
	v_subrev_nc_u32_e32 v28, s4, v28
	v_cmpx_eq_u32_e64 v20, v28
	s_cbranch_execz .LBB48_10
; %bb.14:                               ;   in Loop: Header=BB48_12 Depth=3
	v_lshlrev_b64 v[29:30], 4, v[2:3]
	v_lshlrev_b64 v[31:32], 4, v[12:13]
	v_add_co_u32 v29, vcc_lo, v25, v29
	v_add_co_ci_u32_e64 v30, null, v26, v30, vcc_lo
	v_add_co_u32 v33, vcc_lo, v18, v31
	v_add_co_ci_u32_e64 v34, null, v19, v32, vcc_lo
	global_load_dwordx4 v[29:32], v[29:30], off
	global_load_dwordx4 v[33:36], v[33:34], off
	s_waitcnt vmcnt(0)
	v_fma_f64 v[9:10], v[29:30], v[33:34], v[9:10]
	v_fma_f64 v[15:16], v[31:32], v[33:34], v[15:16]
	v_fma_f64 v[9:10], -v[31:32], v[35:36], v[9:10]
	v_fma_f64 v[15:16], v[29:30], v[35:36], v[15:16]
	s_branch .LBB48_10
.LBB48_15:                              ;   in Loop: Header=BB48_8 Depth=2
	s_or_b32 exec_lo, exec_lo, s38
.LBB48_16:                              ;   in Loop: Header=BB48_8 Depth=2
	s_or_b32 exec_lo, exec_lo, s37
	v_lshlrev_b64 v[13:14], 4, v[4:5]
	v_cmp_le_i32_e64 s1, v1, v7
	s_mov_b32 s37, exec_lo
	v_add_co_u32 v13, vcc_lo, s30, v13
	v_add_co_ci_u32_e64 v14, null, s31, v14, vcc_lo
	global_load_dwordx4 v[17:20], v[13:14], off
	s_waitcnt vmcnt(0)
	v_add_f64 v[13:14], v[17:18], -v[9:10]
	v_add_f64 v[9:10], v[19:20], -v[15:16]
	v_cmpx_gt_i32_e64 v1, v7
	s_cbranch_execz .LBB48_18
; %bb.17:                               ;   in Loop: Header=BB48_8 Depth=2
	v_lshlrev_b64 v[15:16], 4, v[7:8]
	v_add_co_u32 v15, vcc_lo, s2, v15
	v_add_co_ci_u32_e64 v16, null, s3, v16, vcc_lo
	global_load_dwordx4 v[15:18], v[15:16], off
	s_waitcnt vmcnt(0)
	v_mul_f64 v[19:20], v[17:18], v[17:18]
	v_fma_f64 v[19:20], v[15:16], v[15:16], v[19:20]
	v_div_scale_f64 v[28:29], null, v[19:20], v[19:20], 1.0
	v_div_scale_f64 v[34:35], vcc_lo, 1.0, v[19:20], 1.0
	v_rcp_f64_e32 v[30:31], v[28:29]
	v_fma_f64 v[32:33], -v[28:29], v[30:31], 1.0
	v_fma_f64 v[30:31], v[30:31], v[32:33], v[30:31]
	v_fma_f64 v[32:33], -v[28:29], v[30:31], 1.0
	v_fma_f64 v[30:31], v[30:31], v[32:33], v[30:31]
	v_mul_f64 v[32:33], v[34:35], v[30:31]
	v_fma_f64 v[28:29], -v[28:29], v[32:33], v[34:35]
	v_div_fmas_f64 v[28:29], v[28:29], v[30:31], v[32:33]
	v_mul_f64 v[30:31], v[9:10], v[17:18]
	v_mul_f64 v[17:18], v[17:18], -v[13:14]
	v_div_fixup_f64 v[19:20], v[28:29], v[19:20], 1.0
	v_fma_f64 v[13:14], v[13:14], v[15:16], v[30:31]
	v_fma_f64 v[9:10], v[9:10], v[15:16], v[17:18]
	v_mul_f64 v[13:14], v[13:14], v[19:20]
	v_mul_f64 v[9:10], v[9:10], v[19:20]
.LBB48_18:                              ;   in Loop: Header=BB48_8 Depth=2
	s_or_b32 exec_lo, exec_lo, s37
	v_cmp_gt_f64_e32 vcc_lo, 0, v[13:14]
	v_xor_b32_e32 v5, 0x80000000, v14
	v_xor_b32_e32 v17, 0x80000000, v10
	v_mov_b32_e32 v15, v13
	s_mov_b32 s37, exec_lo
                                        ; implicit-def: $vgpr19_vgpr20
	v_cndmask_b32_e32 v16, v14, v5, vcc_lo
	v_cmp_gt_f64_e32 vcc_lo, 0, v[9:10]
	v_cndmask_b32_e32 v18, v10, v17, vcc_lo
	v_mov_b32_e32 v17, v9
	v_cmpx_ngt_f64_e32 v[15:16], v[17:18]
	s_xor_b32 s37, exec_lo, s37
	s_cbranch_execnz .LBB48_21
; %bb.19:                               ;   in Loop: Header=BB48_8 Depth=2
	s_andn2_saveexec_b32 s37, s37
	s_cbranch_execnz .LBB48_24
.LBB48_20:                              ;   in Loop: Header=BB48_8 Depth=2
	s_or_b32 exec_lo, exec_lo, s37
	v_cmp_class_f64_e64 s38, v[19:20], 0x1f8
	s_and_saveexec_b32 s37, s38
	s_cbranch_execz .LBB48_7
	s_branch .LBB48_25
.LBB48_21:                              ;   in Loop: Header=BB48_8 Depth=2
	v_mov_b32_e32 v19, 0
	v_mov_b32_e32 v20, 0
	s_mov_b32 s38, exec_lo
	v_cmpx_neq_f64_e32 0, v[9:10]
	s_cbranch_execz .LBB48_23
; %bb.22:                               ;   in Loop: Header=BB48_8 Depth=2
	v_div_scale_f64 v[19:20], null, v[17:18], v[17:18], v[15:16]
	v_div_scale_f64 v[32:33], vcc_lo, v[15:16], v[17:18], v[15:16]
	v_rcp_f64_e32 v[28:29], v[19:20]
	v_fma_f64 v[30:31], -v[19:20], v[28:29], 1.0
	v_fma_f64 v[28:29], v[28:29], v[30:31], v[28:29]
	v_fma_f64 v[30:31], -v[19:20], v[28:29], 1.0
	v_fma_f64 v[28:29], v[28:29], v[30:31], v[28:29]
	v_mul_f64 v[30:31], v[32:33], v[28:29]
	v_fma_f64 v[19:20], -v[19:20], v[30:31], v[32:33]
	v_div_fmas_f64 v[19:20], v[19:20], v[28:29], v[30:31]
	v_div_fixup_f64 v[15:16], v[19:20], v[17:18], v[15:16]
	v_fma_f64 v[15:16], v[15:16], v[15:16], 1.0
	v_cmp_gt_f64_e32 vcc_lo, 0x10000000, v[15:16]
	v_cndmask_b32_e64 v5, 0, 0x100, vcc_lo
	v_ldexp_f64 v[15:16], v[15:16], v5
	v_cndmask_b32_e64 v5, 0, 0xffffff80, vcc_lo
	v_rsq_f64_e32 v[19:20], v[15:16]
	v_cmp_class_f64_e64 vcc_lo, v[15:16], 0x260
	v_mul_f64 v[28:29], v[15:16], v[19:20]
	v_mul_f64 v[19:20], v[19:20], 0.5
	v_fma_f64 v[30:31], -v[19:20], v[28:29], 0.5
	v_fma_f64 v[28:29], v[28:29], v[30:31], v[28:29]
	v_fma_f64 v[19:20], v[19:20], v[30:31], v[19:20]
	v_fma_f64 v[30:31], -v[28:29], v[28:29], v[15:16]
	v_fma_f64 v[28:29], v[30:31], v[19:20], v[28:29]
	v_fma_f64 v[30:31], -v[28:29], v[28:29], v[15:16]
	v_fma_f64 v[19:20], v[30:31], v[19:20], v[28:29]
	v_ldexp_f64 v[19:20], v[19:20], v5
	v_cndmask_b32_e32 v16, v20, v16, vcc_lo
	v_cndmask_b32_e32 v15, v19, v15, vcc_lo
	v_mul_f64 v[19:20], v[17:18], v[15:16]
.LBB48_23:                              ;   in Loop: Header=BB48_8 Depth=2
	s_or_b32 exec_lo, exec_lo, s38
                                        ; implicit-def: $vgpr15_vgpr16
                                        ; implicit-def: $vgpr17_vgpr18
	s_andn2_saveexec_b32 s37, s37
	s_cbranch_execz .LBB48_20
.LBB48_24:                              ;   in Loop: Header=BB48_8 Depth=2
	v_div_scale_f64 v[19:20], null, v[15:16], v[15:16], v[17:18]
	v_div_scale_f64 v[32:33], vcc_lo, v[17:18], v[15:16], v[17:18]
	v_rcp_f64_e32 v[28:29], v[19:20]
	v_fma_f64 v[30:31], -v[19:20], v[28:29], 1.0
	v_fma_f64 v[28:29], v[28:29], v[30:31], v[28:29]
	v_fma_f64 v[30:31], -v[19:20], v[28:29], 1.0
	v_fma_f64 v[28:29], v[28:29], v[30:31], v[28:29]
	v_mul_f64 v[30:31], v[32:33], v[28:29]
	v_fma_f64 v[19:20], -v[19:20], v[30:31], v[32:33]
	v_div_fmas_f64 v[19:20], v[19:20], v[28:29], v[30:31]
	v_div_fixup_f64 v[17:18], v[19:20], v[15:16], v[17:18]
	v_fma_f64 v[17:18], v[17:18], v[17:18], 1.0
	v_cmp_gt_f64_e32 vcc_lo, 0x10000000, v[17:18]
	v_cndmask_b32_e64 v5, 0, 0x100, vcc_lo
	v_ldexp_f64 v[17:18], v[17:18], v5
	v_cndmask_b32_e64 v5, 0, 0xffffff80, vcc_lo
	v_rsq_f64_e32 v[19:20], v[17:18]
	v_cmp_class_f64_e64 vcc_lo, v[17:18], 0x260
	v_mul_f64 v[28:29], v[17:18], v[19:20]
	v_mul_f64 v[19:20], v[19:20], 0.5
	v_fma_f64 v[30:31], -v[19:20], v[28:29], 0.5
	v_fma_f64 v[28:29], v[28:29], v[30:31], v[28:29]
	v_fma_f64 v[19:20], v[19:20], v[30:31], v[19:20]
	v_fma_f64 v[30:31], -v[28:29], v[28:29], v[17:18]
	v_fma_f64 v[28:29], v[30:31], v[19:20], v[28:29]
	v_fma_f64 v[30:31], -v[28:29], v[28:29], v[17:18]
	v_fma_f64 v[19:20], v[30:31], v[19:20], v[28:29]
	v_ldexp_f64 v[19:20], v[19:20], v5
	v_cndmask_b32_e32 v18, v20, v18, vcc_lo
	v_cndmask_b32_e32 v17, v19, v17, vcc_lo
	v_mul_f64 v[19:20], v[15:16], v[17:18]
	s_or_b32 exec_lo, exec_lo, s37
	v_cmp_class_f64_e64 s38, v[19:20], 0x1f8
	s_and_saveexec_b32 s37, s38
	s_cbranch_execz .LBB48_7
.LBB48_25:                              ;   in Loop: Header=BB48_8 Depth=2
	s_mov_b32 s38, 0
                                        ; implicit-def: $vgpr15_vgpr16
	s_and_saveexec_b32 s39, s1
	s_xor_b32 s1, exec_lo, s39
	s_cbranch_execnz .LBB48_28
; %bb.26:                               ;   in Loop: Header=BB48_8 Depth=2
	s_andn2_saveexec_b32 s1, s1
	s_cbranch_execnz .LBB48_41
.LBB48_27:                              ;   in Loop: Header=BB48_8 Depth=2
	s_or_b32 exec_lo, exec_lo, s1
	s_and_b32 exec_lo, exec_lo, s38
	s_cbranch_execz .LBB48_7
	s_branch .LBB48_50
.LBB48_28:                              ;   in Loop: Header=BB48_8 Depth=2
	s_mov_b32 s39, exec_lo
                                        ; implicit-def: $vgpr15_vgpr16
	v_cmpx_ge_i32_e64 v1, v7
	s_xor_b32 s39, exec_lo, s39
	s_cbranch_execz .LBB48_30
; %bb.29:                               ;   in Loop: Header=BB48_8 Depth=2
	v_lshlrev_b64 v[7:8], 4, v[7:8]
	s_mov_b32 s38, exec_lo
                                        ; implicit-def: $vgpr12
                                        ; implicit-def: $vgpr27
                                        ; implicit-def: $vgpr11
	v_add_co_u32 v15, vcc_lo, s2, v7
	v_add_co_ci_u32_e64 v16, null, s3, v8, vcc_lo
	global_store_dwordx2 v[15:16], v[13:14], off
                                        ; implicit-def: $vgpr13_vgpr14
.LBB48_30:                              ;   in Loop: Header=BB48_8 Depth=2
	s_andn2_saveexec_b32 s39, s39
	s_cbranch_execz .LBB48_40
; %bb.31:                               ;   in Loop: Header=BB48_8 Depth=2
	s_mov_b32 s41, s38
	s_mov_b32 s40, exec_lo
                                        ; implicit-def: $vgpr15_vgpr16
	v_cmpx_lt_i32_e64 v12, v27
	s_cbranch_execz .LBB48_39
; %bb.32:                               ;   in Loop: Header=BB48_8 Depth=2
	s_mov_b32 s42, 0
                                        ; implicit-def: $sgpr41
                                        ; implicit-def: $sgpr44
                                        ; implicit-def: $sgpr43
	s_inst_prefetch 0x1
	s_branch .LBB48_34
	.p2align	6
.LBB48_33:                              ;   in Loop: Header=BB48_34 Depth=3
	s_or_b32 exec_lo, exec_lo, s45
	s_and_b32 s45, exec_lo, s44
	s_or_b32 s42, s45, s42
	s_andn2_b32 s41, s41, exec_lo
	s_and_b32 s45, s43, exec_lo
	s_or_b32 s41, s41, s45
	s_andn2_b32 exec_lo, exec_lo, s42
	s_cbranch_execz .LBB48_36
.LBB48_34:                              ;   Parent Loop BB48_4 Depth=1
                                        ;     Parent Loop BB48_8 Depth=2
                                        ; =>    This Inner Loop Header: Depth=3
	v_add_nc_u32_e32 v7, v11, v12
	s_or_b32 s43, s43, exec_lo
	s_or_b32 s44, s44, exec_lo
	s_mov_b32 s45, exec_lo
	v_ashrrev_i32_e32 v8, 31, v7
	v_lshlrev_b64 v[15:16], 2, v[7:8]
	v_add_co_u32 v15, vcc_lo, s12, v15
	v_add_co_ci_u32_e64 v16, null, s13, v16, vcc_lo
	global_load_dword v2, v[15:16], off
	s_waitcnt vmcnt(0)
	v_subrev_nc_u32_e32 v2, s4, v2
	v_cmpx_ne_u32_e64 v2, v1
	s_cbranch_execz .LBB48_33
; %bb.35:                               ;   in Loop: Header=BB48_34 Depth=3
	v_add_nc_u32_e32 v12, 1, v12
	s_andn2_b32 s44, s44, exec_lo
	s_andn2_b32 s43, s43, exec_lo
	v_cmp_ge_i32_e32 vcc_lo, v12, v27
	s_and_b32 s46, vcc_lo, exec_lo
	s_or_b32 s44, s44, s46
	s_branch .LBB48_33
.LBB48_36:                              ;   in Loop: Header=BB48_8 Depth=2
	s_inst_prefetch 0x2
	s_or_b32 exec_lo, exec_lo, s42
	s_mov_b32 s42, s38
                                        ; implicit-def: $vgpr15_vgpr16
	s_and_saveexec_b32 s43, s41
	s_xor_b32 s41, exec_lo, s43
	s_cbranch_execz .LBB48_38
; %bb.37:                               ;   in Loop: Header=BB48_8 Depth=2
	v_lshlrev_b64 v[7:8], 4, v[7:8]
	s_or_b32 s42, s38, exec_lo
	v_add_co_u32 v15, vcc_lo, s14, v7
	v_add_co_ci_u32_e64 v16, null, s15, v8, vcc_lo
	global_store_dwordx2 v[15:16], v[13:14], off
.LBB48_38:                              ;   in Loop: Header=BB48_8 Depth=2
	s_or_b32 exec_lo, exec_lo, s41
	s_andn2_b32 s41, s38, exec_lo
	s_and_b32 s42, s42, exec_lo
	s_or_b32 s41, s41, s42
.LBB48_39:                              ;   in Loop: Header=BB48_8 Depth=2
	s_or_b32 exec_lo, exec_lo, s40
	s_andn2_b32 s38, s38, exec_lo
	s_and_b32 s40, s41, exec_lo
	s_or_b32 s38, s38, s40
.LBB48_40:                              ;   in Loop: Header=BB48_8 Depth=2
	s_or_b32 exec_lo, exec_lo, s39
	s_and_b32 s38, s38, exec_lo
                                        ; implicit-def: $vgpr13_vgpr14
                                        ; implicit-def: $vgpr7_vgpr8
	s_andn2_saveexec_b32 s1, s1
	s_cbranch_execz .LBB48_27
.LBB48_41:                              ;   in Loop: Header=BB48_8 Depth=2
	s_mov_b32 s40, s38
	s_mov_b32 s39, exec_lo
                                        ; implicit-def: $vgpr15_vgpr16
	v_cmpx_lt_i32_e64 v2, v22
	s_cbranch_execz .LBB48_49
; %bb.42:                               ;   in Loop: Header=BB48_8 Depth=2
	s_mov_b32 s41, 0
                                        ; implicit-def: $sgpr40
                                        ; implicit-def: $sgpr43
                                        ; implicit-def: $sgpr42
	s_inst_prefetch 0x1
	s_branch .LBB48_44
	.p2align	6
.LBB48_43:                              ;   in Loop: Header=BB48_44 Depth=3
	s_or_b32 exec_lo, exec_lo, s44
	s_and_b32 s44, exec_lo, s43
	s_or_b32 s41, s44, s41
	s_andn2_b32 s40, s40, exec_lo
	s_and_b32 s44, s42, exec_lo
	s_or_b32 s40, s40, s44
	s_andn2_b32 exec_lo, exec_lo, s41
	s_cbranch_execz .LBB48_46
.LBB48_44:                              ;   Parent Loop BB48_4 Depth=1
                                        ;     Parent Loop BB48_8 Depth=2
                                        ; =>    This Inner Loop Header: Depth=3
	v_add_nc_u32_e32 v11, v6, v2
	s_or_b32 s42, s42, exec_lo
	s_or_b32 s43, s43, exec_lo
	s_mov_b32 s44, exec_lo
	v_ashrrev_i32_e32 v12, 31, v11
	v_lshlrev_b64 v[15:16], 2, v[11:12]
	v_add_co_u32 v15, vcc_lo, s20, v15
	v_add_co_ci_u32_e64 v16, null, s21, v16, vcc_lo
	global_load_dword v5, v[15:16], off
	s_waitcnt vmcnt(0)
	v_subrev_nc_u32_e32 v5, s34, v5
	v_cmpx_ne_u32_e64 v5, v7
	s_cbranch_execz .LBB48_43
; %bb.45:                               ;   in Loop: Header=BB48_44 Depth=3
	v_add_nc_u32_e32 v2, 1, v2
	s_andn2_b32 s43, s43, exec_lo
	s_andn2_b32 s42, s42, exec_lo
	v_cmp_ge_i32_e32 vcc_lo, v2, v22
	s_and_b32 s45, vcc_lo, exec_lo
	s_or_b32 s43, s43, s45
	s_branch .LBB48_43
.LBB48_46:                              ;   in Loop: Header=BB48_8 Depth=2
	s_inst_prefetch 0x2
	s_or_b32 exec_lo, exec_lo, s41
	s_mov_b32 s41, s38
                                        ; implicit-def: $vgpr15_vgpr16
	s_and_saveexec_b32 s42, s40
	s_xor_b32 s40, exec_lo, s42
	s_cbranch_execz .LBB48_48
; %bb.47:                               ;   in Loop: Header=BB48_8 Depth=2
	v_lshlrev_b64 v[7:8], 4, v[11:12]
	s_or_b32 s41, s38, exec_lo
	v_add_co_u32 v15, vcc_lo, s22, v7
	v_add_co_ci_u32_e64 v16, null, s23, v8, vcc_lo
	global_store_dwordx2 v[15:16], v[13:14], off
.LBB48_48:                              ;   in Loop: Header=BB48_8 Depth=2
	s_or_b32 exec_lo, exec_lo, s40
	s_andn2_b32 s40, s38, exec_lo
	s_and_b32 s41, s41, exec_lo
	s_or_b32 s40, s40, s41
.LBB48_49:                              ;   in Loop: Header=BB48_8 Depth=2
	s_or_b32 exec_lo, exec_lo, s39
	s_andn2_b32 s38, s38, exec_lo
	s_and_b32 s39, s40, exec_lo
	s_or_b32 s38, s38, s39
	s_or_b32 exec_lo, exec_lo, s1
	s_and_b32 exec_lo, exec_lo, s38
	s_cbranch_execz .LBB48_7
.LBB48_50:                              ;   in Loop: Header=BB48_8 Depth=2
	global_store_dwordx2 v[15:16], v[9:10], off offset:8
	s_branch .LBB48_7
.LBB48_51:
	s_endpgm
	.section	.rodata,"a",@progbits
	.p2align	6, 0x0
	.amdhsa_kernel _ZN9rocsparseL25kernel_correction_no_normILi1024ELi64E21rocsparse_complex_numIdEiiEEvT3_T2_PKS4_S6_PKS3_PKT1_21rocsparse_index_base_S6_S6_S8_PS9_SC_S6_S6_S8_SD_SC_SD_
		.amdhsa_group_segment_fixed_size 0
		.amdhsa_private_segment_fixed_size 0
		.amdhsa_kernarg_size 136
		.amdhsa_user_sgpr_count 6
		.amdhsa_user_sgpr_private_segment_buffer 1
		.amdhsa_user_sgpr_dispatch_ptr 0
		.amdhsa_user_sgpr_queue_ptr 0
		.amdhsa_user_sgpr_kernarg_segment_ptr 1
		.amdhsa_user_sgpr_dispatch_id 0
		.amdhsa_user_sgpr_flat_scratch_init 0
		.amdhsa_user_sgpr_private_segment_size 0
		.amdhsa_wavefront_size32 1
		.amdhsa_uses_dynamic_stack 0
		.amdhsa_system_sgpr_private_segment_wavefront_offset 0
		.amdhsa_system_sgpr_workgroup_id_x 1
		.amdhsa_system_sgpr_workgroup_id_y 0
		.amdhsa_system_sgpr_workgroup_id_z 0
		.amdhsa_system_sgpr_workgroup_info 0
		.amdhsa_system_vgpr_workitem_id 0
		.amdhsa_next_free_vgpr 37
		.amdhsa_next_free_sgpr 47
		.amdhsa_reserve_vcc 1
		.amdhsa_reserve_flat_scratch 0
		.amdhsa_float_round_mode_32 0
		.amdhsa_float_round_mode_16_64 0
		.amdhsa_float_denorm_mode_32 3
		.amdhsa_float_denorm_mode_16_64 3
		.amdhsa_dx10_clamp 1
		.amdhsa_ieee_mode 1
		.amdhsa_fp16_overflow 0
		.amdhsa_workgroup_processor_mode 1
		.amdhsa_memory_ordered 1
		.amdhsa_forward_progress 1
		.amdhsa_shared_vgpr_count 0
		.amdhsa_exception_fp_ieee_invalid_op 0
		.amdhsa_exception_fp_denorm_src 0
		.amdhsa_exception_fp_ieee_div_zero 0
		.amdhsa_exception_fp_ieee_overflow 0
		.amdhsa_exception_fp_ieee_underflow 0
		.amdhsa_exception_fp_ieee_inexact 0
		.amdhsa_exception_int_div_zero 0
	.end_amdhsa_kernel
	.section	.text._ZN9rocsparseL25kernel_correction_no_normILi1024ELi64E21rocsparse_complex_numIdEiiEEvT3_T2_PKS4_S6_PKS3_PKT1_21rocsparse_index_base_S6_S6_S8_PS9_SC_S6_S6_S8_SD_SC_SD_,"axG",@progbits,_ZN9rocsparseL25kernel_correction_no_normILi1024ELi64E21rocsparse_complex_numIdEiiEEvT3_T2_PKS4_S6_PKS3_PKT1_21rocsparse_index_base_S6_S6_S8_PS9_SC_S6_S6_S8_SD_SC_SD_,comdat
.Lfunc_end48:
	.size	_ZN9rocsparseL25kernel_correction_no_normILi1024ELi64E21rocsparse_complex_numIdEiiEEvT3_T2_PKS4_S6_PKS3_PKT1_21rocsparse_index_base_S6_S6_S8_PS9_SC_S6_S6_S8_SD_SC_SD_, .Lfunc_end48-_ZN9rocsparseL25kernel_correction_no_normILi1024ELi64E21rocsparse_complex_numIdEiiEEvT3_T2_PKS4_S6_PKS3_PKT1_21rocsparse_index_base_S6_S6_S8_PS9_SC_S6_S6_S8_SD_SC_SD_
                                        ; -- End function
	.set _ZN9rocsparseL25kernel_correction_no_normILi1024ELi64E21rocsparse_complex_numIdEiiEEvT3_T2_PKS4_S6_PKS3_PKT1_21rocsparse_index_base_S6_S6_S8_PS9_SC_S6_S6_S8_SD_SC_SD_.num_vgpr, 37
	.set _ZN9rocsparseL25kernel_correction_no_normILi1024ELi64E21rocsparse_complex_numIdEiiEEvT3_T2_PKS4_S6_PKS3_PKT1_21rocsparse_index_base_S6_S6_S8_PS9_SC_S6_S6_S8_SD_SC_SD_.num_agpr, 0
	.set _ZN9rocsparseL25kernel_correction_no_normILi1024ELi64E21rocsparse_complex_numIdEiiEEvT3_T2_PKS4_S6_PKS3_PKT1_21rocsparse_index_base_S6_S6_S8_PS9_SC_S6_S6_S8_SD_SC_SD_.numbered_sgpr, 47
	.set _ZN9rocsparseL25kernel_correction_no_normILi1024ELi64E21rocsparse_complex_numIdEiiEEvT3_T2_PKS4_S6_PKS3_PKT1_21rocsparse_index_base_S6_S6_S8_PS9_SC_S6_S6_S8_SD_SC_SD_.num_named_barrier, 0
	.set _ZN9rocsparseL25kernel_correction_no_normILi1024ELi64E21rocsparse_complex_numIdEiiEEvT3_T2_PKS4_S6_PKS3_PKT1_21rocsparse_index_base_S6_S6_S8_PS9_SC_S6_S6_S8_SD_SC_SD_.private_seg_size, 0
	.set _ZN9rocsparseL25kernel_correction_no_normILi1024ELi64E21rocsparse_complex_numIdEiiEEvT3_T2_PKS4_S6_PKS3_PKT1_21rocsparse_index_base_S6_S6_S8_PS9_SC_S6_S6_S8_SD_SC_SD_.uses_vcc, 1
	.set _ZN9rocsparseL25kernel_correction_no_normILi1024ELi64E21rocsparse_complex_numIdEiiEEvT3_T2_PKS4_S6_PKS3_PKT1_21rocsparse_index_base_S6_S6_S8_PS9_SC_S6_S6_S8_SD_SC_SD_.uses_flat_scratch, 0
	.set _ZN9rocsparseL25kernel_correction_no_normILi1024ELi64E21rocsparse_complex_numIdEiiEEvT3_T2_PKS4_S6_PKS3_PKT1_21rocsparse_index_base_S6_S6_S8_PS9_SC_S6_S6_S8_SD_SC_SD_.has_dyn_sized_stack, 0
	.set _ZN9rocsparseL25kernel_correction_no_normILi1024ELi64E21rocsparse_complex_numIdEiiEEvT3_T2_PKS4_S6_PKS3_PKT1_21rocsparse_index_base_S6_S6_S8_PS9_SC_S6_S6_S8_SD_SC_SD_.has_recursion, 0
	.set _ZN9rocsparseL25kernel_correction_no_normILi1024ELi64E21rocsparse_complex_numIdEiiEEvT3_T2_PKS4_S6_PKS3_PKT1_21rocsparse_index_base_S6_S6_S8_PS9_SC_S6_S6_S8_SD_SC_SD_.has_indirect_call, 0
	.section	.AMDGPU.csdata,"",@progbits
; Kernel info:
; codeLenInByte = 2620
; TotalNumSgprs: 49
; NumVgprs: 37
; ScratchSize: 0
; MemoryBound: 1
; FloatMode: 240
; IeeeMode: 1
; LDSByteSize: 0 bytes/workgroup (compile time only)
; SGPRBlocks: 0
; VGPRBlocks: 4
; NumSGPRsForWavesPerEU: 49
; NumVGPRsForWavesPerEU: 37
; Occupancy: 16
; WaveLimiterHint : 1
; COMPUTE_PGM_RSRC2:SCRATCH_EN: 0
; COMPUTE_PGM_RSRC2:USER_SGPR: 6
; COMPUTE_PGM_RSRC2:TRAP_HANDLER: 0
; COMPUTE_PGM_RSRC2:TGID_X_EN: 1
; COMPUTE_PGM_RSRC2:TGID_Y_EN: 0
; COMPUTE_PGM_RSRC2:TGID_Z_EN: 0
; COMPUTE_PGM_RSRC2:TIDIG_COMP_CNT: 0
	.section	.text._ZN9rocsparseL17kernel_correctionILi1024ELi1E21rocsparse_complex_numIdEiiEEvT3_T2_PKS4_S6_PKS3_PKT1_21rocsparse_index_base_S6_S6_S8_PS9_SC_S6_S6_S8_SD_SC_SD_PNS_15floating_traitsIS9_E6data_tEPKSG_,"axG",@progbits,_ZN9rocsparseL17kernel_correctionILi1024ELi1E21rocsparse_complex_numIdEiiEEvT3_T2_PKS4_S6_PKS3_PKT1_21rocsparse_index_base_S6_S6_S8_PS9_SC_S6_S6_S8_SD_SC_SD_PNS_15floating_traitsIS9_E6data_tEPKSG_,comdat
	.globl	_ZN9rocsparseL17kernel_correctionILi1024ELi1E21rocsparse_complex_numIdEiiEEvT3_T2_PKS4_S6_PKS3_PKT1_21rocsparse_index_base_S6_S6_S8_PS9_SC_S6_S6_S8_SD_SC_SD_PNS_15floating_traitsIS9_E6data_tEPKSG_ ; -- Begin function _ZN9rocsparseL17kernel_correctionILi1024ELi1E21rocsparse_complex_numIdEiiEEvT3_T2_PKS4_S6_PKS3_PKT1_21rocsparse_index_base_S6_S6_S8_PS9_SC_S6_S6_S8_SD_SC_SD_PNS_15floating_traitsIS9_E6data_tEPKSG_
	.p2align	8
	.type	_ZN9rocsparseL17kernel_correctionILi1024ELi1E21rocsparse_complex_numIdEiiEEvT3_T2_PKS4_S6_PKS3_PKT1_21rocsparse_index_base_S6_S6_S8_PS9_SC_S6_S6_S8_SD_SC_SD_PNS_15floating_traitsIS9_E6data_tEPKSG_,@function
_ZN9rocsparseL17kernel_correctionILi1024ELi1E21rocsparse_complex_numIdEiiEEvT3_T2_PKS4_S6_PKS3_PKT1_21rocsparse_index_base_S6_S6_S8_PS9_SC_S6_S6_S8_SD_SC_SD_PNS_15floating_traitsIS9_E6data_tEPKSG_: ; @_ZN9rocsparseL17kernel_correctionILi1024ELi1E21rocsparse_complex_numIdEiiEEvT3_T2_PKS4_S6_PKS3_PKT1_21rocsparse_index_base_S6_S6_S8_PS9_SC_S6_S6_S8_SD_SC_SD_PNS_15floating_traitsIS9_E6data_tEPKSG_
; %bb.0:
	s_load_dword s33, s[4:5], 0x0
	s_lshl_b32 s35, s6, 10
	v_mov_b32_e32 v7, 0
	v_or_b32_e32 v5, s35, v0
	v_mov_b32_e32 v8, 0
	s_mov_b32 s3, exec_lo
	s_waitcnt lgkmcnt(0)
	v_cmpx_gt_i32_e64 s33, v5
	s_cbranch_execz .LBB49_81
; %bb.1:
	v_mov_b32_e32 v7, 0
	v_mov_b32_e32 v8, 0
	s_addk_i32 s35, 0x400
	s_mov_b32 s34, exec_lo
	v_cmpx_gt_u32_e64 s35, v5
	s_cbranch_execz .LBB49_80
; %bb.2:
	s_clause 0x6
	s_load_dwordx8 s[8:15], s[4:5], 0x58
	s_load_dwordx8 s[16:23], s[4:5], 0x30
	;; [unrolled: 1-line block ×3, first 2 shown]
	s_load_dword s36, s[4:5], 0x28
	s_load_dword s37, s[4:5], 0x50
	s_load_dwordx2 s[6:7], s[4:5], 0x80
	s_load_dword s38, s[4:5], 0x78
	v_mov_b32_e32 v7, 0
	v_mov_b32_e32 v8, 0
	;; [unrolled: 1-line block ×3, first 2 shown]
	s_mov_b32 s39, 0
	s_branch .LBB49_6
.LBB49_3:                               ;   in Loop: Header=BB49_6 Depth=1
	s_or_b32 exec_lo, exec_lo, s42
.LBB49_4:                               ;   in Loop: Header=BB49_6 Depth=1
	s_or_b32 exec_lo, exec_lo, s41
.LBB49_5:                               ;   in Loop: Header=BB49_6 Depth=1
	s_or_b32 exec_lo, exec_lo, s40
	v_add_nc_u32_e32 v5, 0x400, v5
	v_cmp_le_u32_e32 vcc_lo, s35, v5
	s_or_b32 s39, vcc_lo, s39
	s_andn2_b32 exec_lo, exec_lo, s39
	s_cbranch_execz .LBB49_79
.LBB49_6:                               ; =>This Loop Header: Depth=1
                                        ;     Child Loop BB49_10 Depth 2
                                        ;       Child Loop BB49_14 Depth 3
                                        ;       Child Loop BB49_36 Depth 3
	;; [unrolled: 1-line block ×5, first 2 shown]
	s_mov_b32 s40, exec_lo
	v_cmpx_gt_i32_e64 s33, v5
	s_cbranch_execz .LBB49_5
; %bb.7:                                ;   in Loop: Header=BB49_6 Depth=1
	v_ashrrev_i32_e32 v6, 31, v5
	s_mov_b32 s41, exec_lo
	v_lshlrev_b64 v[1:2], 2, v[5:6]
	s_waitcnt lgkmcnt(0)
	v_add_co_u32 v3, vcc_lo, s24, v1
	v_add_co_ci_u32_e64 v4, null, s25, v2, vcc_lo
	v_add_co_u32 v11, vcc_lo, s26, v1
	v_add_co_ci_u32_e64 v12, null, s27, v2, vcc_lo
	global_load_dword v3, v[3:4], off
	global_load_dword v4, v[11:12], off
	s_waitcnt vmcnt(0)
	v_cmpx_lt_i32_e64 v3, v4
	s_cbranch_execz .LBB49_4
; %bb.8:                                ;   in Loop: Header=BB49_6 Depth=1
	v_add_co_u32 v11, vcc_lo, s16, v1
	v_add_co_ci_u32_e64 v12, null, s17, v2, vcc_lo
	v_add_co_u32 v1, vcc_lo, s18, v1
	v_add_co_ci_u32_e64 v2, null, s19, v2, vcc_lo
	global_load_dword v9, v[11:12], off
	v_subrev_nc_u32_e32 v6, s36, v4
	v_subrev_nc_u32_e32 v13, s36, v3
	global_load_dword v14, v[1:2], off
	s_mov_b32 s42, 0
	s_waitcnt vmcnt(1)
	v_subrev_nc_u32_e32 v11, s37, v9
	s_waitcnt vmcnt(0)
	v_sub_nc_u32_e32 v29, v14, v9
	v_ashrrev_i32_e32 v12, 31, v11
	v_cmp_lt_i32_e64 s0, 0, v29
	v_lshlrev_b64 v[1:2], 2, v[11:12]
	v_lshlrev_b64 v[3:4], 4, v[11:12]
	v_add_co_u32 v12, vcc_lo, s20, v1
	v_add_co_ci_u32_e64 v30, null, s21, v2, vcc_lo
	v_add_co_u32 v31, vcc_lo, s22, v3
	v_add_co_ci_u32_e64 v32, null, s23, v4, vcc_lo
	s_branch .LBB49_10
.LBB49_9:                               ;   in Loop: Header=BB49_10 Depth=2
	s_or_b32 exec_lo, exec_lo, s43
	v_cmp_nlg_f64_e64 s2, 0x7ff00000, |v[1:2]|
	v_cmp_gt_f64_e32 vcc_lo, v[7:8], v[1:2]
	v_add_nc_u32_e32 v13, 1, v13
	v_cmp_ge_i32_e64 s1, v13, v6
	s_or_b32 vcc_lo, s2, vcc_lo
	s_or_b32 s42, s1, s42
	v_cndmask_b32_e32 v8, v2, v8, vcc_lo
	v_cndmask_b32_e32 v7, v1, v7, vcc_lo
	s_andn2_b32 exec_lo, exec_lo, s42
	s_cbranch_execz .LBB49_3
.LBB49_10:                              ;   Parent Loop BB49_6 Depth=1
                                        ; =>  This Loop Header: Depth=2
                                        ;       Child Loop BB49_14 Depth 3
                                        ;       Child Loop BB49_36 Depth 3
	;; [unrolled: 1-line block ×5, first 2 shown]
	v_ashrrev_i32_e32 v14, 31, v13
	v_mov_b32_e32 v9, 0
	v_mov_b32_e32 v23, 0
	;; [unrolled: 1-line block ×4, first 2 shown]
	v_lshlrev_b64 v[1:2], 2, v[13:14]
	v_mov_b32_e32 v26, 0
	v_mov_b32_e32 v20, v9
	v_add_co_u32 v1, vcc_lo, s28, v1
	v_add_co_ci_u32_e64 v2, null, s29, v2, vcc_lo
	global_load_dword v1, v[1:2], off
	s_waitcnt vmcnt(0)
	v_subrev_nc_u32_e32 v15, s36, v1
	v_ashrrev_i32_e32 v16, 31, v15
	v_lshlrev_b64 v[1:2], 2, v[15:16]
	v_add_co_u32 v3, vcc_lo, s8, v1
	v_add_co_ci_u32_e64 v4, null, s9, v2, vcc_lo
	v_add_co_u32 v1, vcc_lo, s10, v1
	v_add_co_ci_u32_e64 v2, null, s11, v2, vcc_lo
	global_load_dword v3, v[3:4], off
	global_load_dword v1, v[1:2], off
	s_waitcnt vmcnt(1)
	v_subrev_nc_u32_e32 v19, s38, v3
	s_waitcnt vmcnt(0)
	v_sub_nc_u32_e32 v33, v1, v3
	s_and_saveexec_b32 s2, s0
	s_cbranch_execz .LBB49_18
; %bb.11:                               ;   in Loop: Header=BB49_10 Depth=2
	v_ashrrev_i32_e32 v20, 31, v19
	v_mov_b32_e32 v23, 0
	v_mov_b32_e32 v25, 0
	;; [unrolled: 1-line block ×4, first 2 shown]
	v_lshlrev_b64 v[1:2], 2, v[19:20]
	v_lshlrev_b64 v[3:4], 4, v[19:20]
	v_mov_b32_e32 v20, 0
	v_mov_b32_e32 v9, 0
	s_mov_b32 s43, 0
                                        ; implicit-def: $sgpr44
	v_add_co_u32 v1, vcc_lo, s12, v1
	v_add_co_ci_u32_e64 v2, null, s13, v2, vcc_lo
	v_add_co_u32 v3, vcc_lo, s14, v3
	v_add_co_ci_u32_e64 v4, null, s15, v4, vcc_lo
	s_branch .LBB49_14
.LBB49_12:                              ;   in Loop: Header=BB49_14 Depth=3
	s_or_b32 exec_lo, exec_lo, s1
	v_cmp_le_i32_e32 vcc_lo, v17, v18
	v_cmp_ge_i32_e64 s1, v17, v18
	v_add_co_ci_u32_e64 v9, null, 0, v9, vcc_lo
	v_add_co_ci_u32_e64 v20, null, 0, v20, s1
	s_andn2_b32 s1, s44, exec_lo
	v_cmp_ge_i32_e32 vcc_lo, v9, v29
	s_and_b32 s44, vcc_lo, exec_lo
	s_or_b32 s44, s1, s44
.LBB49_13:                              ;   in Loop: Header=BB49_14 Depth=3
	s_or_b32 exec_lo, exec_lo, s45
	s_and_b32 s1, exec_lo, s44
	s_or_b32 s43, s1, s43
	s_andn2_b32 exec_lo, exec_lo, s43
	s_cbranch_execz .LBB49_17
.LBB49_14:                              ;   Parent Loop BB49_6 Depth=1
                                        ;     Parent Loop BB49_10 Depth=2
                                        ; =>    This Inner Loop Header: Depth=3
	s_or_b32 s44, s44, exec_lo
	s_mov_b32 s45, exec_lo
	v_cmpx_lt_i32_e64 v20, v33
	s_cbranch_execz .LBB49_13
; %bb.15:                               ;   in Loop: Header=BB49_14 Depth=3
	v_mov_b32_e32 v21, v10
	v_lshlrev_b64 v[17:18], 2, v[9:10]
	s_mov_b32 s1, exec_lo
	v_lshlrev_b64 v[27:28], 2, v[20:21]
	v_add_co_u32 v17, vcc_lo, v12, v17
	v_add_co_ci_u32_e64 v18, null, v30, v18, vcc_lo
	v_add_co_u32 v27, vcc_lo, v1, v27
	v_add_co_ci_u32_e64 v28, null, v2, v28, vcc_lo
	global_load_dword v17, v[17:18], off
	global_load_dword v18, v[27:28], off
	s_waitcnt vmcnt(1)
	v_subrev_nc_u32_e32 v17, s37, v17
	s_waitcnt vmcnt(0)
	v_subrev_nc_u32_e32 v18, s38, v18
	v_cmpx_eq_u32_e64 v17, v18
	s_cbranch_execz .LBB49_12
; %bb.16:                               ;   in Loop: Header=BB49_14 Depth=3
	v_lshlrev_b64 v[27:28], 4, v[9:10]
	v_lshlrev_b64 v[21:22], 4, v[20:21]
	v_add_co_u32 v27, vcc_lo, v31, v27
	v_add_co_ci_u32_e64 v28, null, v32, v28, vcc_lo
	v_add_co_u32 v21, vcc_lo, v3, v21
	v_add_co_ci_u32_e64 v22, null, v4, v22, vcc_lo
	global_load_dwordx4 v[34:37], v[27:28], off
	global_load_dwordx4 v[38:41], v[21:22], off
	s_waitcnt vmcnt(0)
	v_fma_f64 v[21:22], v[34:35], v[38:39], v[23:24]
	v_fma_f64 v[25:26], v[36:37], v[38:39], v[25:26]
	v_fma_f64 v[23:24], -v[36:37], v[40:41], v[21:22]
	v_fma_f64 v[25:26], v[34:35], v[40:41], v[25:26]
	s_branch .LBB49_12
.LBB49_17:                              ;   in Loop: Header=BB49_10 Depth=2
	s_or_b32 exec_lo, exec_lo, s43
.LBB49_18:                              ;   in Loop: Header=BB49_10 Depth=2
	s_or_b32 exec_lo, exec_lo, s2
	v_lshlrev_b64 v[1:2], 4, v[13:14]
	v_cmp_le_i32_e64 s2, v5, v15
	s_mov_b32 s1, exec_lo
	v_add_co_u32 v1, vcc_lo, s30, v1
	v_add_co_ci_u32_e64 v2, null, s31, v2, vcc_lo
	global_load_dwordx4 v[1:4], v[1:2], off
	s_waitcnt vmcnt(0)
	v_add_f64 v[21:22], v[1:2], -v[23:24]
	v_add_f64 v[17:18], v[3:4], -v[25:26]
	v_cmpx_gt_i32_e64 v5, v15
	s_cbranch_execz .LBB49_20
; %bb.19:                               ;   in Loop: Header=BB49_10 Depth=2
	v_lshlrev_b64 v[27:28], 4, v[15:16]
	v_add_co_u32 v27, vcc_lo, s6, v27
	v_add_co_ci_u32_e64 v28, null, s7, v28, vcc_lo
	global_load_dwordx4 v[34:37], v[27:28], off
	s_waitcnt vmcnt(0)
	v_mul_f64 v[27:28], v[36:37], v[36:37]
	v_fma_f64 v[27:28], v[34:35], v[34:35], v[27:28]
	v_div_scale_f64 v[38:39], null, v[27:28], v[27:28], 1.0
	v_div_scale_f64 v[44:45], vcc_lo, 1.0, v[27:28], 1.0
	v_rcp_f64_e32 v[40:41], v[38:39]
	v_fma_f64 v[42:43], -v[38:39], v[40:41], 1.0
	v_fma_f64 v[40:41], v[40:41], v[42:43], v[40:41]
	v_fma_f64 v[42:43], -v[38:39], v[40:41], 1.0
	v_fma_f64 v[40:41], v[40:41], v[42:43], v[40:41]
	v_mul_f64 v[42:43], v[44:45], v[40:41]
	v_fma_f64 v[38:39], -v[38:39], v[42:43], v[44:45]
	v_div_fmas_f64 v[38:39], v[38:39], v[40:41], v[42:43]
	v_mul_f64 v[40:41], v[17:18], v[36:37]
	v_mul_f64 v[36:37], v[36:37], -v[21:22]
	v_div_fixup_f64 v[27:28], v[38:39], v[27:28], 1.0
	v_fma_f64 v[21:22], v[21:22], v[34:35], v[40:41]
	v_fma_f64 v[17:18], v[17:18], v[34:35], v[36:37]
	v_mul_f64 v[21:22], v[21:22], v[27:28]
	v_mul_f64 v[17:18], v[17:18], v[27:28]
.LBB49_20:                              ;   in Loop: Header=BB49_10 Depth=2
	s_or_b32 exec_lo, exec_lo, s1
	v_cmp_lt_i32_e64 s1, v20, v33
	s_mov_b32 s43, exec_lo
	v_cmpx_ge_i32_e64 v20, v33
	s_xor_b32 s43, exec_lo, s43
	s_cbranch_execnz .LBB49_33
; %bb.21:                               ;   in Loop: Header=BB49_10 Depth=2
	s_andn2_saveexec_b32 s43, s43
	s_cbranch_execnz .LBB49_49
.LBB49_22:                              ;   in Loop: Header=BB49_10 Depth=2
	s_or_b32 exec_lo, exec_lo, s43
	s_mov_b32 s43, exec_lo
	v_cmpx_eq_u32_e64 v5, v15
	s_cbranch_execz .LBB49_24
.LBB49_23:                              ;   in Loop: Header=BB49_10 Depth=2
	v_lshlrev_b64 v[27:28], 4, v[15:16]
	v_add_co_u32 v27, vcc_lo, s6, v27
	v_add_co_ci_u32_e64 v28, null, s7, v28, vcc_lo
	global_load_dwordx4 v[34:37], v[27:28], off
	s_waitcnt vmcnt(0)
	v_add_f64 v[23:24], v[23:24], v[34:35]
	v_add_f64 v[25:26], v[25:26], v[36:37]
.LBB49_24:                              ;   in Loop: Header=BB49_10 Depth=2
	s_or_b32 exec_lo, exec_lo, s43
	v_add_f64 v[23:24], v[1:2], -v[23:24]
	v_add_f64 v[25:26], v[3:4], -v[25:26]
	s_mov_b32 s43, exec_lo
	v_cmp_gt_f64_e32 vcc_lo, 0, v[23:24]
	v_xor_b32_e32 v1, 0x80000000, v24
	v_xor_b32_e32 v2, 0x80000000, v26
	v_mov_b32_e32 v3, v25
	v_cndmask_b32_e32 v24, v24, v1, vcc_lo
	v_cmp_gt_f64_e32 vcc_lo, 0, v[25:26]
	v_cndmask_b32_e32 v4, v26, v2, vcc_lo
                                        ; implicit-def: $vgpr1_vgpr2
	v_cmpx_ngt_f64_e32 v[23:24], v[3:4]
	s_xor_b32 s43, exec_lo, s43
	s_cbranch_execz .LBB49_28
; %bb.25:                               ;   in Loop: Header=BB49_10 Depth=2
	v_mov_b32_e32 v1, 0
	v_mov_b32_e32 v2, 0
	s_mov_b32 s44, exec_lo
	v_cmpx_neq_f64_e32 0, v[25:26]
	s_cbranch_execz .LBB49_27
; %bb.26:                               ;   in Loop: Header=BB49_10 Depth=2
	v_div_scale_f64 v[1:2], null, v[3:4], v[3:4], v[23:24]
	v_div_scale_f64 v[34:35], vcc_lo, v[23:24], v[3:4], v[23:24]
	v_rcp_f64_e32 v[25:26], v[1:2]
	v_fma_f64 v[27:28], -v[1:2], v[25:26], 1.0
	v_fma_f64 v[25:26], v[25:26], v[27:28], v[25:26]
	v_fma_f64 v[27:28], -v[1:2], v[25:26], 1.0
	v_fma_f64 v[25:26], v[25:26], v[27:28], v[25:26]
	v_mul_f64 v[27:28], v[34:35], v[25:26]
	v_fma_f64 v[1:2], -v[1:2], v[27:28], v[34:35]
	v_div_fmas_f64 v[1:2], v[1:2], v[25:26], v[27:28]
	v_div_fixup_f64 v[1:2], v[1:2], v[3:4], v[23:24]
	v_fma_f64 v[1:2], v[1:2], v[1:2], 1.0
	v_cmp_gt_f64_e32 vcc_lo, 0x10000000, v[1:2]
	v_cndmask_b32_e64 v14, 0, 0x100, vcc_lo
	v_ldexp_f64 v[1:2], v[1:2], v14
	v_cndmask_b32_e64 v14, 0, 0xffffff80, vcc_lo
	v_rsq_f64_e32 v[23:24], v[1:2]
	v_cmp_class_f64_e64 vcc_lo, v[1:2], 0x260
	v_mul_f64 v[25:26], v[1:2], v[23:24]
	v_mul_f64 v[23:24], v[23:24], 0.5
	v_fma_f64 v[27:28], -v[23:24], v[25:26], 0.5
	v_fma_f64 v[25:26], v[25:26], v[27:28], v[25:26]
	v_fma_f64 v[23:24], v[23:24], v[27:28], v[23:24]
	v_fma_f64 v[27:28], -v[25:26], v[25:26], v[1:2]
	v_fma_f64 v[25:26], v[27:28], v[23:24], v[25:26]
	v_fma_f64 v[27:28], -v[25:26], v[25:26], v[1:2]
	v_fma_f64 v[23:24], v[27:28], v[23:24], v[25:26]
	v_ldexp_f64 v[23:24], v[23:24], v14
	v_cndmask_b32_e32 v2, v24, v2, vcc_lo
	v_cndmask_b32_e32 v1, v23, v1, vcc_lo
	v_mul_f64 v[1:2], v[3:4], v[1:2]
.LBB49_27:                              ;   in Loop: Header=BB49_10 Depth=2
	s_or_b32 exec_lo, exec_lo, s44
                                        ; implicit-def: $vgpr23_vgpr24
                                        ; implicit-def: $vgpr3_vgpr4
.LBB49_28:                              ;   in Loop: Header=BB49_10 Depth=2
	s_andn2_saveexec_b32 s43, s43
	s_cbranch_execz .LBB49_30
; %bb.29:                               ;   in Loop: Header=BB49_10 Depth=2
	v_div_scale_f64 v[1:2], null, v[23:24], v[23:24], v[3:4]
	v_div_scale_f64 v[34:35], vcc_lo, v[3:4], v[23:24], v[3:4]
	v_rcp_f64_e32 v[25:26], v[1:2]
	v_fma_f64 v[27:28], -v[1:2], v[25:26], 1.0
	v_fma_f64 v[25:26], v[25:26], v[27:28], v[25:26]
	v_fma_f64 v[27:28], -v[1:2], v[25:26], 1.0
	v_fma_f64 v[25:26], v[25:26], v[27:28], v[25:26]
	v_mul_f64 v[27:28], v[34:35], v[25:26]
	v_fma_f64 v[1:2], -v[1:2], v[27:28], v[34:35]
	v_div_fmas_f64 v[1:2], v[1:2], v[25:26], v[27:28]
	v_div_fixup_f64 v[1:2], v[1:2], v[23:24], v[3:4]
	v_fma_f64 v[1:2], v[1:2], v[1:2], 1.0
	v_cmp_gt_f64_e32 vcc_lo, 0x10000000, v[1:2]
	v_cndmask_b32_e64 v3, 0, 0x100, vcc_lo
	v_cndmask_b32_e64 v14, 0, 0xffffff80, vcc_lo
	v_ldexp_f64 v[1:2], v[1:2], v3
	v_rsq_f64_e32 v[3:4], v[1:2]
	v_cmp_class_f64_e64 vcc_lo, v[1:2], 0x260
	v_mul_f64 v[25:26], v[1:2], v[3:4]
	v_mul_f64 v[3:4], v[3:4], 0.5
	v_fma_f64 v[27:28], -v[3:4], v[25:26], 0.5
	v_fma_f64 v[25:26], v[25:26], v[27:28], v[25:26]
	v_fma_f64 v[3:4], v[3:4], v[27:28], v[3:4]
	v_fma_f64 v[27:28], -v[25:26], v[25:26], v[1:2]
	v_fma_f64 v[25:26], v[27:28], v[3:4], v[25:26]
	v_fma_f64 v[27:28], -v[25:26], v[25:26], v[1:2]
	v_fma_f64 v[3:4], v[27:28], v[3:4], v[25:26]
	v_ldexp_f64 v[3:4], v[3:4], v14
	v_cndmask_b32_e32 v2, v4, v2, vcc_lo
	v_cndmask_b32_e32 v1, v3, v1, vcc_lo
	v_mul_f64 v[1:2], v[23:24], v[1:2]
.LBB49_30:                              ;   in Loop: Header=BB49_10 Depth=2
	s_or_b32 exec_lo, exec_lo, s43
	v_cmp_gt_f64_e32 vcc_lo, 0, v[21:22]
	v_xor_b32_e32 v4, 0x80000000, v22
	v_xor_b32_e32 v14, 0x80000000, v18
	v_mov_b32_e32 v3, v21
	v_mov_b32_e32 v23, v17
	s_mov_b32 s43, exec_lo
                                        ; implicit-def: $vgpr25_vgpr26
	v_cndmask_b32_e32 v4, v22, v4, vcc_lo
	v_cmp_gt_f64_e32 vcc_lo, 0, v[17:18]
	v_cndmask_b32_e32 v24, v18, v14, vcc_lo
	v_cmpx_ngt_f64_e32 v[3:4], v[23:24]
	s_xor_b32 s43, exec_lo, s43
	s_cbranch_execnz .LBB49_38
; %bb.31:                               ;   in Loop: Header=BB49_10 Depth=2
	s_andn2_saveexec_b32 s43, s43
	s_cbranch_execnz .LBB49_41
.LBB49_32:                              ;   in Loop: Header=BB49_10 Depth=2
	s_or_b32 exec_lo, exec_lo, s43
	v_cmp_class_f64_e64 s44, v[25:26], 0x1f8
	s_and_saveexec_b32 s43, s44
	s_cbranch_execz .LBB49_9
	s_branch .LBB49_42
.LBB49_33:                              ;   in Loop: Header=BB49_10 Depth=2
	s_mov_b32 s44, exec_lo
	v_cmpx_lt_i32_e64 v9, v29
	s_cbranch_execz .LBB49_48
; %bb.34:                               ;   in Loop: Header=BB49_10 Depth=2
	v_mov_b32_e32 v14, v9
	s_mov_b32 s46, 0
                                        ; implicit-def: $sgpr45
                                        ; implicit-def: $sgpr48
                                        ; implicit-def: $sgpr47
	s_inst_prefetch 0x1
	s_branch .LBB49_36
	.p2align	6
.LBB49_35:                              ;   in Loop: Header=BB49_36 Depth=3
	s_or_b32 exec_lo, exec_lo, s49
	s_and_b32 s49, exec_lo, s48
	s_or_b32 s46, s49, s46
	s_andn2_b32 s45, s45, exec_lo
	s_and_b32 s49, s47, exec_lo
	s_or_b32 s45, s45, s49
	s_andn2_b32 exec_lo, exec_lo, s46
	s_cbranch_execz .LBB49_45
.LBB49_36:                              ;   Parent Loop BB49_6 Depth=1
                                        ;     Parent Loop BB49_10 Depth=2
                                        ; =>    This Inner Loop Header: Depth=3
	v_add_nc_u32_e32 v27, v11, v14
	s_or_b32 s47, s47, exec_lo
	s_or_b32 s48, s48, exec_lo
	s_mov_b32 s49, exec_lo
	v_ashrrev_i32_e32 v28, 31, v27
	v_lshlrev_b64 v[34:35], 2, v[27:28]
	v_add_co_u32 v34, vcc_lo, s20, v34
	v_add_co_ci_u32_e64 v35, null, s21, v35, vcc_lo
	global_load_dword v34, v[34:35], off
	s_waitcnt vmcnt(0)
	v_subrev_nc_u32_e32 v34, s37, v34
	v_cmpx_ne_u32_e64 v34, v15
	s_cbranch_execz .LBB49_35
; %bb.37:                               ;   in Loop: Header=BB49_36 Depth=3
	v_add_nc_u32_e32 v14, 1, v14
	s_andn2_b32 s48, s48, exec_lo
	s_andn2_b32 s47, s47, exec_lo
	v_cmp_ge_i32_e32 vcc_lo, v14, v29
	s_and_b32 s50, vcc_lo, exec_lo
	s_or_b32 s48, s48, s50
	s_branch .LBB49_35
.LBB49_38:                              ;   in Loop: Header=BB49_10 Depth=2
	v_mov_b32_e32 v25, 0
	v_mov_b32_e32 v26, 0
	s_mov_b32 s44, exec_lo
	v_cmpx_neq_f64_e32 0, v[17:18]
	s_cbranch_execz .LBB49_40
; %bb.39:                               ;   in Loop: Header=BB49_10 Depth=2
	v_div_scale_f64 v[25:26], null, v[23:24], v[23:24], v[3:4]
	v_div_scale_f64 v[36:37], vcc_lo, v[3:4], v[23:24], v[3:4]
	v_rcp_f64_e32 v[27:28], v[25:26]
	v_fma_f64 v[34:35], -v[25:26], v[27:28], 1.0
	v_fma_f64 v[27:28], v[27:28], v[34:35], v[27:28]
	v_fma_f64 v[34:35], -v[25:26], v[27:28], 1.0
	v_fma_f64 v[27:28], v[27:28], v[34:35], v[27:28]
	v_mul_f64 v[34:35], v[36:37], v[27:28]
	v_fma_f64 v[25:26], -v[25:26], v[34:35], v[36:37]
	v_div_fmas_f64 v[25:26], v[25:26], v[27:28], v[34:35]
	v_div_fixup_f64 v[3:4], v[25:26], v[23:24], v[3:4]
	v_fma_f64 v[3:4], v[3:4], v[3:4], 1.0
	v_cmp_gt_f64_e32 vcc_lo, 0x10000000, v[3:4]
	v_cndmask_b32_e64 v14, 0, 0x100, vcc_lo
	v_ldexp_f64 v[3:4], v[3:4], v14
	v_cndmask_b32_e64 v14, 0, 0xffffff80, vcc_lo
	v_rsq_f64_e32 v[25:26], v[3:4]
	v_cmp_class_f64_e64 vcc_lo, v[3:4], 0x260
	v_mul_f64 v[27:28], v[3:4], v[25:26]
	v_mul_f64 v[25:26], v[25:26], 0.5
	v_fma_f64 v[34:35], -v[25:26], v[27:28], 0.5
	v_fma_f64 v[27:28], v[27:28], v[34:35], v[27:28]
	v_fma_f64 v[25:26], v[25:26], v[34:35], v[25:26]
	v_fma_f64 v[34:35], -v[27:28], v[27:28], v[3:4]
	v_fma_f64 v[27:28], v[34:35], v[25:26], v[27:28]
	v_fma_f64 v[34:35], -v[27:28], v[27:28], v[3:4]
	v_fma_f64 v[25:26], v[34:35], v[25:26], v[27:28]
	v_ldexp_f64 v[25:26], v[25:26], v14
	v_cndmask_b32_e32 v4, v26, v4, vcc_lo
	v_cndmask_b32_e32 v3, v25, v3, vcc_lo
	v_mul_f64 v[25:26], v[23:24], v[3:4]
.LBB49_40:                              ;   in Loop: Header=BB49_10 Depth=2
	s_or_b32 exec_lo, exec_lo, s44
                                        ; implicit-def: $vgpr3_vgpr4
                                        ; implicit-def: $vgpr23_vgpr24
	s_andn2_saveexec_b32 s43, s43
	s_cbranch_execz .LBB49_32
.LBB49_41:                              ;   in Loop: Header=BB49_10 Depth=2
	v_div_scale_f64 v[25:26], null, v[3:4], v[3:4], v[23:24]
	v_div_scale_f64 v[36:37], vcc_lo, v[23:24], v[3:4], v[23:24]
	v_rcp_f64_e32 v[27:28], v[25:26]
	v_fma_f64 v[34:35], -v[25:26], v[27:28], 1.0
	v_fma_f64 v[27:28], v[27:28], v[34:35], v[27:28]
	v_fma_f64 v[34:35], -v[25:26], v[27:28], 1.0
	v_fma_f64 v[27:28], v[27:28], v[34:35], v[27:28]
	v_mul_f64 v[34:35], v[36:37], v[27:28]
	v_fma_f64 v[25:26], -v[25:26], v[34:35], v[36:37]
	v_div_fmas_f64 v[25:26], v[25:26], v[27:28], v[34:35]
	v_div_fixup_f64 v[23:24], v[25:26], v[3:4], v[23:24]
	v_fma_f64 v[23:24], v[23:24], v[23:24], 1.0
	v_cmp_gt_f64_e32 vcc_lo, 0x10000000, v[23:24]
	v_cndmask_b32_e64 v14, 0, 0x100, vcc_lo
	v_ldexp_f64 v[23:24], v[23:24], v14
	v_cndmask_b32_e64 v14, 0, 0xffffff80, vcc_lo
	v_rsq_f64_e32 v[25:26], v[23:24]
	v_cmp_class_f64_e64 vcc_lo, v[23:24], 0x260
	v_mul_f64 v[27:28], v[23:24], v[25:26]
	v_mul_f64 v[25:26], v[25:26], 0.5
	v_fma_f64 v[34:35], -v[25:26], v[27:28], 0.5
	v_fma_f64 v[27:28], v[27:28], v[34:35], v[27:28]
	v_fma_f64 v[25:26], v[25:26], v[34:35], v[25:26]
	v_fma_f64 v[34:35], -v[27:28], v[27:28], v[23:24]
	v_fma_f64 v[27:28], v[34:35], v[25:26], v[27:28]
	v_fma_f64 v[34:35], -v[27:28], v[27:28], v[23:24]
	v_fma_f64 v[25:26], v[34:35], v[25:26], v[27:28]
	v_ldexp_f64 v[25:26], v[25:26], v14
	v_cndmask_b32_e32 v24, v26, v24, vcc_lo
	v_cndmask_b32_e32 v23, v25, v23, vcc_lo
	v_mul_f64 v[25:26], v[3:4], v[23:24]
	s_or_b32 exec_lo, exec_lo, s43
	v_cmp_class_f64_e64 s44, v[25:26], 0x1f8
	s_and_saveexec_b32 s43, s44
	s_cbranch_execz .LBB49_9
.LBB49_42:                              ;   in Loop: Header=BB49_10 Depth=2
	s_mov_b32 s44, 0
                                        ; implicit-def: $vgpr3_vgpr4
	s_and_saveexec_b32 s45, s2
	s_xor_b32 s2, exec_lo, s45
	s_cbranch_execnz .LBB49_56
; %bb.43:                               ;   in Loop: Header=BB49_10 Depth=2
	s_andn2_saveexec_b32 s1, s2
	s_cbranch_execnz .LBB49_69
.LBB49_44:                              ;   in Loop: Header=BB49_10 Depth=2
	s_or_b32 exec_lo, exec_lo, s1
	s_and_b32 exec_lo, exec_lo, s44
	s_cbranch_execz .LBB49_9
	s_branch .LBB49_78
.LBB49_45:                              ;   in Loop: Header=BB49_10 Depth=2
	s_inst_prefetch 0x2
	s_or_b32 exec_lo, exec_lo, s46
	s_and_saveexec_b32 s46, s45
	s_xor_b32 s45, exec_lo, s46
	s_cbranch_execz .LBB49_47
; %bb.46:                               ;   in Loop: Header=BB49_10 Depth=2
	v_lshlrev_b64 v[34:35], 4, v[15:16]
	v_lshlrev_b64 v[27:28], 4, v[27:28]
	v_add_co_u32 v34, vcc_lo, s6, v34
	v_add_co_ci_u32_e64 v35, null, s7, v35, vcc_lo
	v_add_co_u32 v27, vcc_lo, s22, v27
	v_add_co_ci_u32_e64 v28, null, s23, v28, vcc_lo
	global_load_dwordx4 v[34:37], v[34:35], off
	global_load_dwordx4 v[38:41], v[27:28], off
	s_waitcnt vmcnt(0)
	v_mul_f64 v[27:28], v[36:37], -v[40:41]
	v_mul_f64 v[36:37], v[36:37], v[38:39]
	v_fma_f64 v[27:28], v[38:39], v[34:35], v[27:28]
	v_fma_f64 v[34:35], v[40:41], v[34:35], v[36:37]
	v_add_f64 v[23:24], v[23:24], v[27:28]
	v_add_f64 v[25:26], v[25:26], v[34:35]
.LBB49_47:                              ;   in Loop: Header=BB49_10 Depth=2
	s_or_b32 exec_lo, exec_lo, s45
.LBB49_48:                              ;   in Loop: Header=BB49_10 Depth=2
	s_or_b32 exec_lo, exec_lo, s44
	s_andn2_saveexec_b32 s43, s43
	s_cbranch_execz .LBB49_22
.LBB49_49:                              ;   in Loop: Header=BB49_10 Depth=2
	v_mov_b32_e32 v14, v20
	s_mov_b32 s45, 0
                                        ; implicit-def: $sgpr44
                                        ; implicit-def: $sgpr47
                                        ; implicit-def: $sgpr46
	s_inst_prefetch 0x1
	s_branch .LBB49_51
	.p2align	6
.LBB49_50:                              ;   in Loop: Header=BB49_51 Depth=3
	s_or_b32 exec_lo, exec_lo, s48
	s_and_b32 s48, exec_lo, s47
	s_or_b32 s45, s48, s45
	s_andn2_b32 s44, s44, exec_lo
	s_and_b32 s48, s46, exec_lo
	s_or_b32 s44, s44, s48
	s_andn2_b32 exec_lo, exec_lo, s45
	s_cbranch_execz .LBB49_53
.LBB49_51:                              ;   Parent Loop BB49_6 Depth=1
                                        ;     Parent Loop BB49_10 Depth=2
                                        ; =>    This Inner Loop Header: Depth=3
	v_add_nc_u32_e32 v27, v19, v14
	s_or_b32 s46, s46, exec_lo
	s_or_b32 s47, s47, exec_lo
	s_mov_b32 s48, exec_lo
	v_ashrrev_i32_e32 v28, 31, v27
	v_lshlrev_b64 v[34:35], 2, v[27:28]
	v_add_co_u32 v34, vcc_lo, s12, v34
	v_add_co_ci_u32_e64 v35, null, s13, v35, vcc_lo
	global_load_dword v34, v[34:35], off
	s_waitcnt vmcnt(0)
	v_subrev_nc_u32_e32 v34, s38, v34
	v_cmpx_ne_u32_e64 v34, v5
	s_cbranch_execz .LBB49_50
; %bb.52:                               ;   in Loop: Header=BB49_51 Depth=3
	v_add_nc_u32_e32 v14, 1, v14
	s_andn2_b32 s47, s47, exec_lo
	s_andn2_b32 s46, s46, exec_lo
	v_cmp_ge_i32_e32 vcc_lo, v14, v33
	s_and_b32 s49, vcc_lo, exec_lo
	s_or_b32 s47, s47, s49
	s_branch .LBB49_50
.LBB49_53:                              ;   in Loop: Header=BB49_10 Depth=2
	s_inst_prefetch 0x2
	s_or_b32 exec_lo, exec_lo, s45
	s_and_saveexec_b32 s45, s44
	s_xor_b32 s44, exec_lo, s45
	s_cbranch_execz .LBB49_55
; %bb.54:                               ;   in Loop: Header=BB49_10 Depth=2
	v_lshlrev_b64 v[27:28], 4, v[27:28]
	v_add_co_u32 v27, vcc_lo, s14, v27
	v_add_co_ci_u32_e64 v28, null, s15, v28, vcc_lo
	global_load_dwordx4 v[34:37], v[27:28], off
	s_waitcnt vmcnt(0)
	v_add_f64 v[23:24], v[23:24], v[34:35]
	v_add_f64 v[25:26], v[25:26], v[36:37]
.LBB49_55:                              ;   in Loop: Header=BB49_10 Depth=2
	s_or_b32 exec_lo, exec_lo, s44
	s_or_b32 exec_lo, exec_lo, s43
	s_mov_b32 s43, exec_lo
	v_cmpx_eq_u32_e64 v5, v15
	s_cbranch_execnz .LBB49_23
	s_branch .LBB49_24
.LBB49_56:                              ;   in Loop: Header=BB49_10 Depth=2
	s_mov_b32 s45, exec_lo
                                        ; implicit-def: $vgpr3_vgpr4
	v_cmpx_ge_i32_e64 v5, v15
	s_xor_b32 s45, exec_lo, s45
	s_cbranch_execz .LBB49_58
; %bb.57:                               ;   in Loop: Header=BB49_10 Depth=2
	v_lshlrev_b64 v[3:4], 4, v[15:16]
	s_mov_b32 s44, exec_lo
                                        ; implicit-def: $vgpr20
                                        ; implicit-def: $vgpr19
                                        ; implicit-def: $vgpr33
	v_add_co_u32 v3, vcc_lo, s6, v3
	v_add_co_ci_u32_e64 v4, null, s7, v4, vcc_lo
	global_store_dwordx2 v[3:4], v[21:22], off
                                        ; implicit-def: $vgpr21_vgpr22
.LBB49_58:                              ;   in Loop: Header=BB49_10 Depth=2
	s_andn2_saveexec_b32 s45, s45
	s_cbranch_execz .LBB49_68
; %bb.59:                               ;   in Loop: Header=BB49_10 Depth=2
	s_mov_b32 s47, s44
                                        ; implicit-def: $vgpr3_vgpr4
	s_and_saveexec_b32 s46, s1
	s_cbranch_execz .LBB49_67
; %bb.60:                               ;   in Loop: Header=BB49_10 Depth=2
	s_mov_b32 s47, 0
                                        ; implicit-def: $sgpr1
                                        ; implicit-def: $sgpr49
                                        ; implicit-def: $sgpr48
	s_inst_prefetch 0x1
	s_branch .LBB49_62
	.p2align	6
.LBB49_61:                              ;   in Loop: Header=BB49_62 Depth=3
	s_or_b32 exec_lo, exec_lo, s50
	s_and_b32 s50, exec_lo, s49
	s_or_b32 s47, s50, s47
	s_andn2_b32 s1, s1, exec_lo
	s_and_b32 s50, s48, exec_lo
	s_or_b32 s1, s1, s50
	s_andn2_b32 exec_lo, exec_lo, s47
	s_cbranch_execz .LBB49_64
.LBB49_62:                              ;   Parent Loop BB49_6 Depth=1
                                        ;     Parent Loop BB49_10 Depth=2
                                        ; =>    This Inner Loop Header: Depth=3
	v_add_nc_u32_e32 v14, v19, v20
	s_or_b32 s48, s48, exec_lo
	s_or_b32 s49, s49, exec_lo
	s_mov_b32 s50, exec_lo
	v_ashrrev_i32_e32 v15, 31, v14
	v_lshlrev_b64 v[3:4], 2, v[14:15]
	v_add_co_u32 v3, vcc_lo, s12, v3
	v_add_co_ci_u32_e64 v4, null, s13, v4, vcc_lo
	global_load_dword v3, v[3:4], off
	s_waitcnt vmcnt(0)
	v_subrev_nc_u32_e32 v3, s38, v3
	v_cmpx_ne_u32_e64 v3, v5
	s_cbranch_execz .LBB49_61
; %bb.63:                               ;   in Loop: Header=BB49_62 Depth=3
	v_add_nc_u32_e32 v20, 1, v20
	s_andn2_b32 s49, s49, exec_lo
	s_andn2_b32 s48, s48, exec_lo
	v_cmp_ge_i32_e32 vcc_lo, v20, v33
	s_and_b32 s51, vcc_lo, exec_lo
	s_or_b32 s49, s49, s51
	s_branch .LBB49_61
.LBB49_64:                              ;   in Loop: Header=BB49_10 Depth=2
	s_inst_prefetch 0x2
	s_or_b32 exec_lo, exec_lo, s47
	s_mov_b32 s47, s44
                                        ; implicit-def: $vgpr3_vgpr4
	s_and_saveexec_b32 s48, s1
	s_xor_b32 s1, exec_lo, s48
	s_cbranch_execz .LBB49_66
; %bb.65:                               ;   in Loop: Header=BB49_10 Depth=2
	v_lshlrev_b64 v[3:4], 4, v[14:15]
	s_or_b32 s47, s44, exec_lo
	v_add_co_u32 v3, vcc_lo, s14, v3
	v_add_co_ci_u32_e64 v4, null, s15, v4, vcc_lo
	global_store_dwordx2 v[3:4], v[21:22], off
.LBB49_66:                              ;   in Loop: Header=BB49_10 Depth=2
	s_or_b32 exec_lo, exec_lo, s1
	s_andn2_b32 s1, s44, exec_lo
	s_and_b32 s47, s47, exec_lo
	s_or_b32 s47, s1, s47
.LBB49_67:                              ;   in Loop: Header=BB49_10 Depth=2
	s_or_b32 exec_lo, exec_lo, s46
	s_andn2_b32 s1, s44, exec_lo
	s_and_b32 s44, s47, exec_lo
	s_or_b32 s44, s1, s44
.LBB49_68:                              ;   in Loop: Header=BB49_10 Depth=2
	s_or_b32 exec_lo, exec_lo, s45
	s_and_b32 s44, s44, exec_lo
                                        ; implicit-def: $vgpr21_vgpr22
                                        ; implicit-def: $vgpr15_vgpr16
	s_andn2_saveexec_b32 s1, s2
	s_cbranch_execz .LBB49_44
.LBB49_69:                              ;   in Loop: Header=BB49_10 Depth=2
	s_mov_b32 s45, s44
	s_mov_b32 s2, exec_lo
                                        ; implicit-def: $vgpr3_vgpr4
	v_cmpx_lt_i32_e64 v9, v29
	s_cbranch_execz .LBB49_77
; %bb.70:                               ;   in Loop: Header=BB49_10 Depth=2
	s_mov_b32 s46, 0
                                        ; implicit-def: $sgpr45
                                        ; implicit-def: $sgpr48
                                        ; implicit-def: $sgpr47
	s_inst_prefetch 0x1
	s_branch .LBB49_72
	.p2align	6
.LBB49_71:                              ;   in Loop: Header=BB49_72 Depth=3
	s_or_b32 exec_lo, exec_lo, s49
	s_and_b32 s49, exec_lo, s48
	s_or_b32 s46, s49, s46
	s_andn2_b32 s45, s45, exec_lo
	s_and_b32 s49, s47, exec_lo
	s_or_b32 s45, s45, s49
	s_andn2_b32 exec_lo, exec_lo, s46
	s_cbranch_execz .LBB49_74
.LBB49_72:                              ;   Parent Loop BB49_6 Depth=1
                                        ;     Parent Loop BB49_10 Depth=2
                                        ; =>    This Inner Loop Header: Depth=3
	v_add_nc_u32_e32 v19, v11, v9
	s_or_b32 s47, s47, exec_lo
	s_or_b32 s48, s48, exec_lo
	s_mov_b32 s49, exec_lo
	v_ashrrev_i32_e32 v20, 31, v19
	v_lshlrev_b64 v[3:4], 2, v[19:20]
	v_add_co_u32 v3, vcc_lo, s20, v3
	v_add_co_ci_u32_e64 v4, null, s21, v4, vcc_lo
	global_load_dword v3, v[3:4], off
	s_waitcnt vmcnt(0)
	v_subrev_nc_u32_e32 v3, s37, v3
	v_cmpx_ne_u32_e64 v3, v15
	s_cbranch_execz .LBB49_71
; %bb.73:                               ;   in Loop: Header=BB49_72 Depth=3
	v_add_nc_u32_e32 v9, 1, v9
	s_andn2_b32 s48, s48, exec_lo
	s_andn2_b32 s47, s47, exec_lo
	v_cmp_ge_i32_e32 vcc_lo, v9, v29
	s_and_b32 s50, vcc_lo, exec_lo
	s_or_b32 s48, s48, s50
	s_branch .LBB49_71
.LBB49_74:                              ;   in Loop: Header=BB49_10 Depth=2
	s_inst_prefetch 0x2
	s_or_b32 exec_lo, exec_lo, s46
	s_mov_b32 s46, s44
                                        ; implicit-def: $vgpr3_vgpr4
	s_and_saveexec_b32 s47, s45
	s_xor_b32 s45, exec_lo, s47
	s_cbranch_execz .LBB49_76
; %bb.75:                               ;   in Loop: Header=BB49_10 Depth=2
	v_lshlrev_b64 v[3:4], 4, v[19:20]
	s_or_b32 s46, s44, exec_lo
	v_add_co_u32 v3, vcc_lo, s22, v3
	v_add_co_ci_u32_e64 v4, null, s23, v4, vcc_lo
	global_store_dwordx2 v[3:4], v[21:22], off
.LBB49_76:                              ;   in Loop: Header=BB49_10 Depth=2
	s_or_b32 exec_lo, exec_lo, s45
	s_andn2_b32 s45, s44, exec_lo
	s_and_b32 s46, s46, exec_lo
	s_or_b32 s45, s45, s46
.LBB49_77:                              ;   in Loop: Header=BB49_10 Depth=2
	s_or_b32 exec_lo, exec_lo, s2
	s_andn2_b32 s2, s44, exec_lo
	s_and_b32 s44, s45, exec_lo
	s_or_b32 s44, s2, s44
	s_or_b32 exec_lo, exec_lo, s1
	s_and_b32 exec_lo, exec_lo, s44
	s_cbranch_execz .LBB49_9
.LBB49_78:                              ;   in Loop: Header=BB49_10 Depth=2
	global_store_dwordx2 v[3:4], v[17:18], off offset:8
	s_branch .LBB49_9
.LBB49_79:
	s_or_b32 exec_lo, exec_lo, s39
.LBB49_80:
	s_or_b32 exec_lo, exec_lo, s34
.LBB49_81:
	s_or_b32 exec_lo, exec_lo, s3
	v_lshlrev_b32_e32 v1, 3, v0
	s_mov_b32 s0, exec_lo
	ds_write_b64 v1, v[7:8]
	s_waitcnt lgkmcnt(0)
	s_waitcnt_vscnt null, 0x0
	s_barrier
	buffer_gl0_inv
	v_cmpx_gt_u32_e32 0x200, v0
	s_cbranch_execz .LBB49_83
; %bb.82:
	ds_read2st64_b64 v[2:5], v1 offset1:8
	s_waitcnt lgkmcnt(0)
	v_cmp_lt_f64_e32 vcc_lo, v[2:3], v[4:5]
	v_cndmask_b32_e32 v3, v3, v5, vcc_lo
	v_cndmask_b32_e32 v2, v2, v4, vcc_lo
	ds_write_b64 v1, v[2:3]
.LBB49_83:
	s_or_b32 exec_lo, exec_lo, s0
	s_mov_b32 s0, exec_lo
	s_waitcnt lgkmcnt(0)
	s_barrier
	buffer_gl0_inv
	v_cmpx_gt_u32_e32 0x100, v0
	s_cbranch_execz .LBB49_85
; %bb.84:
	ds_read2st64_b64 v[2:5], v1 offset1:4
	s_waitcnt lgkmcnt(0)
	v_cmp_lt_f64_e32 vcc_lo, v[2:3], v[4:5]
	v_cndmask_b32_e32 v3, v3, v5, vcc_lo
	v_cndmask_b32_e32 v2, v2, v4, vcc_lo
	ds_write_b64 v1, v[2:3]
.LBB49_85:
	s_or_b32 exec_lo, exec_lo, s0
	s_mov_b32 s0, exec_lo
	s_waitcnt lgkmcnt(0)
	;; [unrolled: 15-line block ×4, first 2 shown]
	s_barrier
	buffer_gl0_inv
	v_cmpx_gt_u32_e32 32, v0
	s_cbranch_execz .LBB49_91
; %bb.90:
	ds_read2_b64 v[2:5], v1 offset1:32
	s_waitcnt lgkmcnt(0)
	v_cmp_lt_f64_e32 vcc_lo, v[2:3], v[4:5]
	v_cndmask_b32_e32 v3, v3, v5, vcc_lo
	v_cndmask_b32_e32 v2, v2, v4, vcc_lo
	ds_write_b64 v1, v[2:3]
.LBB49_91:
	s_or_b32 exec_lo, exec_lo, s0
	s_mov_b32 s0, exec_lo
	s_waitcnt lgkmcnt(0)
	s_barrier
	buffer_gl0_inv
	v_cmpx_gt_u32_e32 16, v0
	s_cbranch_execz .LBB49_93
; %bb.92:
	ds_read2_b64 v[2:5], v1 offset1:16
	s_waitcnt lgkmcnt(0)
	v_cmp_lt_f64_e32 vcc_lo, v[2:3], v[4:5]
	v_cndmask_b32_e32 v3, v3, v5, vcc_lo
	v_cndmask_b32_e32 v2, v2, v4, vcc_lo
	ds_write_b64 v1, v[2:3]
.LBB49_93:
	s_or_b32 exec_lo, exec_lo, s0
	s_mov_b32 s0, exec_lo
	s_waitcnt lgkmcnt(0)
	;; [unrolled: 15-line block ×4, first 2 shown]
	s_barrier
	buffer_gl0_inv
	v_cmpx_gt_u32_e32 2, v0
	s_cbranch_execz .LBB49_99
; %bb.98:
	ds_read2_b64 v[2:5], v1 offset1:2
	s_waitcnt lgkmcnt(0)
	v_cmp_lt_f64_e32 vcc_lo, v[2:3], v[4:5]
	v_cndmask_b32_e32 v3, v3, v5, vcc_lo
	v_cndmask_b32_e32 v2, v2, v4, vcc_lo
	ds_write_b64 v1, v[2:3]
.LBB49_99:
	s_or_b32 exec_lo, exec_lo, s0
	v_cmp_eq_u32_e32 vcc_lo, 0, v0
	s_waitcnt lgkmcnt(0)
	s_barrier
	buffer_gl0_inv
	s_and_saveexec_b32 s1, vcc_lo
	s_cbranch_execz .LBB49_101
; %bb.100:
	v_mov_b32_e32 v4, 0
	ds_read_b128 v[0:3], v4
	s_waitcnt lgkmcnt(0)
	v_cmp_lt_f64_e64 s0, v[0:1], v[2:3]
	v_cndmask_b32_e64 v1, v1, v3, s0
	v_cndmask_b32_e64 v0, v0, v2, s0
	ds_write_b64 v4, v[0:1]
.LBB49_101:
	s_or_b32 exec_lo, exec_lo, s1
	s_waitcnt lgkmcnt(0)
	s_barrier
	buffer_gl0_inv
	s_and_saveexec_b32 s0, vcc_lo
	s_cbranch_execz .LBB49_105
; %bb.102:
	v_mbcnt_lo_u32_b32 v0, exec_lo, 0
	s_mov_b32 s6, 0
	v_cmp_eq_u32_e32 vcc_lo, 0, v0
	s_and_b32 exec_lo, exec_lo, vcc_lo
	s_cbranch_execz .LBB49_105
; %bb.103:
	s_load_dwordx4 s[0:3], s[4:5], 0x88
	v_mov_b32_e32 v6, 0
	s_waitcnt lgkmcnt(0)
	s_clause 0x1
	global_load_dwordx2 v[0:1], v6, s[2:3]
	global_load_dwordx2 v[2:3], v6, s[0:1]
	ds_read_b64 v[4:5], v6
	s_waitcnt vmcnt(1) lgkmcnt(0)
	v_div_scale_f64 v[7:8], null, v[0:1], v[0:1], v[4:5]
	v_rcp_f64_e32 v[9:10], v[7:8]
	v_fma_f64 v[11:12], -v[7:8], v[9:10], 1.0
	v_fma_f64 v[9:10], v[9:10], v[11:12], v[9:10]
	v_fma_f64 v[11:12], -v[7:8], v[9:10], 1.0
	v_fma_f64 v[9:10], v[9:10], v[11:12], v[9:10]
	v_div_scale_f64 v[11:12], vcc_lo, v[4:5], v[0:1], v[4:5]
	v_mul_f64 v[13:14], v[11:12], v[9:10]
	v_fma_f64 v[7:8], -v[7:8], v[13:14], v[11:12]
	v_div_fmas_f64 v[7:8], v[7:8], v[9:10], v[13:14]
	v_div_fixup_f64 v[0:1], v[7:8], v[0:1], v[4:5]
	v_max_f64 v[4:5], v[0:1], v[0:1]
.LBB49_104:                             ; =>This Inner Loop Header: Depth=1
	s_waitcnt vmcnt(0)
	v_max_f64 v[0:1], v[2:3], v[2:3]
	v_max_f64 v[0:1], v[0:1], v[4:5]
	global_atomic_cmpswap_x2 v[0:1], v6, v[0:3], s[0:1] glc
	s_waitcnt vmcnt(0)
	v_cmp_eq_u64_e32 vcc_lo, v[0:1], v[2:3]
	v_mov_b32_e32 v3, v1
	v_mov_b32_e32 v2, v0
	s_or_b32 s6, vcc_lo, s6
	s_andn2_b32 exec_lo, exec_lo, s6
	s_cbranch_execnz .LBB49_104
.LBB49_105:
	s_endpgm
	.section	.rodata,"a",@progbits
	.p2align	6, 0x0
	.amdhsa_kernel _ZN9rocsparseL17kernel_correctionILi1024ELi1E21rocsparse_complex_numIdEiiEEvT3_T2_PKS4_S6_PKS3_PKT1_21rocsparse_index_base_S6_S6_S8_PS9_SC_S6_S6_S8_SD_SC_SD_PNS_15floating_traitsIS9_E6data_tEPKSG_
		.amdhsa_group_segment_fixed_size 8192
		.amdhsa_private_segment_fixed_size 0
		.amdhsa_kernarg_size 152
		.amdhsa_user_sgpr_count 6
		.amdhsa_user_sgpr_private_segment_buffer 1
		.amdhsa_user_sgpr_dispatch_ptr 0
		.amdhsa_user_sgpr_queue_ptr 0
		.amdhsa_user_sgpr_kernarg_segment_ptr 1
		.amdhsa_user_sgpr_dispatch_id 0
		.amdhsa_user_sgpr_flat_scratch_init 0
		.amdhsa_user_sgpr_private_segment_size 0
		.amdhsa_wavefront_size32 1
		.amdhsa_uses_dynamic_stack 0
		.amdhsa_system_sgpr_private_segment_wavefront_offset 0
		.amdhsa_system_sgpr_workgroup_id_x 1
		.amdhsa_system_sgpr_workgroup_id_y 0
		.amdhsa_system_sgpr_workgroup_id_z 0
		.amdhsa_system_sgpr_workgroup_info 0
		.amdhsa_system_vgpr_workitem_id 0
		.amdhsa_next_free_vgpr 46
		.amdhsa_next_free_sgpr 52
		.amdhsa_reserve_vcc 1
		.amdhsa_reserve_flat_scratch 0
		.amdhsa_float_round_mode_32 0
		.amdhsa_float_round_mode_16_64 0
		.amdhsa_float_denorm_mode_32 3
		.amdhsa_float_denorm_mode_16_64 3
		.amdhsa_dx10_clamp 1
		.amdhsa_ieee_mode 1
		.amdhsa_fp16_overflow 0
		.amdhsa_workgroup_processor_mode 1
		.amdhsa_memory_ordered 1
		.amdhsa_forward_progress 1
		.amdhsa_shared_vgpr_count 0
		.amdhsa_exception_fp_ieee_invalid_op 0
		.amdhsa_exception_fp_denorm_src 0
		.amdhsa_exception_fp_ieee_div_zero 0
		.amdhsa_exception_fp_ieee_overflow 0
		.amdhsa_exception_fp_ieee_underflow 0
		.amdhsa_exception_fp_ieee_inexact 0
		.amdhsa_exception_int_div_zero 0
	.end_amdhsa_kernel
	.section	.text._ZN9rocsparseL17kernel_correctionILi1024ELi1E21rocsparse_complex_numIdEiiEEvT3_T2_PKS4_S6_PKS3_PKT1_21rocsparse_index_base_S6_S6_S8_PS9_SC_S6_S6_S8_SD_SC_SD_PNS_15floating_traitsIS9_E6data_tEPKSG_,"axG",@progbits,_ZN9rocsparseL17kernel_correctionILi1024ELi1E21rocsparse_complex_numIdEiiEEvT3_T2_PKS4_S6_PKS3_PKT1_21rocsparse_index_base_S6_S6_S8_PS9_SC_S6_S6_S8_SD_SC_SD_PNS_15floating_traitsIS9_E6data_tEPKSG_,comdat
.Lfunc_end49:
	.size	_ZN9rocsparseL17kernel_correctionILi1024ELi1E21rocsparse_complex_numIdEiiEEvT3_T2_PKS4_S6_PKS3_PKT1_21rocsparse_index_base_S6_S6_S8_PS9_SC_S6_S6_S8_SD_SC_SD_PNS_15floating_traitsIS9_E6data_tEPKSG_, .Lfunc_end49-_ZN9rocsparseL17kernel_correctionILi1024ELi1E21rocsparse_complex_numIdEiiEEvT3_T2_PKS4_S6_PKS3_PKT1_21rocsparse_index_base_S6_S6_S8_PS9_SC_S6_S6_S8_SD_SC_SD_PNS_15floating_traitsIS9_E6data_tEPKSG_
                                        ; -- End function
	.set _ZN9rocsparseL17kernel_correctionILi1024ELi1E21rocsparse_complex_numIdEiiEEvT3_T2_PKS4_S6_PKS3_PKT1_21rocsparse_index_base_S6_S6_S8_PS9_SC_S6_S6_S8_SD_SC_SD_PNS_15floating_traitsIS9_E6data_tEPKSG_.num_vgpr, 46
	.set _ZN9rocsparseL17kernel_correctionILi1024ELi1E21rocsparse_complex_numIdEiiEEvT3_T2_PKS4_S6_PKS3_PKT1_21rocsparse_index_base_S6_S6_S8_PS9_SC_S6_S6_S8_SD_SC_SD_PNS_15floating_traitsIS9_E6data_tEPKSG_.num_agpr, 0
	.set _ZN9rocsparseL17kernel_correctionILi1024ELi1E21rocsparse_complex_numIdEiiEEvT3_T2_PKS4_S6_PKS3_PKT1_21rocsparse_index_base_S6_S6_S8_PS9_SC_S6_S6_S8_SD_SC_SD_PNS_15floating_traitsIS9_E6data_tEPKSG_.numbered_sgpr, 52
	.set _ZN9rocsparseL17kernel_correctionILi1024ELi1E21rocsparse_complex_numIdEiiEEvT3_T2_PKS4_S6_PKS3_PKT1_21rocsparse_index_base_S6_S6_S8_PS9_SC_S6_S6_S8_SD_SC_SD_PNS_15floating_traitsIS9_E6data_tEPKSG_.num_named_barrier, 0
	.set _ZN9rocsparseL17kernel_correctionILi1024ELi1E21rocsparse_complex_numIdEiiEEvT3_T2_PKS4_S6_PKS3_PKT1_21rocsparse_index_base_S6_S6_S8_PS9_SC_S6_S6_S8_SD_SC_SD_PNS_15floating_traitsIS9_E6data_tEPKSG_.private_seg_size, 0
	.set _ZN9rocsparseL17kernel_correctionILi1024ELi1E21rocsparse_complex_numIdEiiEEvT3_T2_PKS4_S6_PKS3_PKT1_21rocsparse_index_base_S6_S6_S8_PS9_SC_S6_S6_S8_SD_SC_SD_PNS_15floating_traitsIS9_E6data_tEPKSG_.uses_vcc, 1
	.set _ZN9rocsparseL17kernel_correctionILi1024ELi1E21rocsparse_complex_numIdEiiEEvT3_T2_PKS4_S6_PKS3_PKT1_21rocsparse_index_base_S6_S6_S8_PS9_SC_S6_S6_S8_SD_SC_SD_PNS_15floating_traitsIS9_E6data_tEPKSG_.uses_flat_scratch, 0
	.set _ZN9rocsparseL17kernel_correctionILi1024ELi1E21rocsparse_complex_numIdEiiEEvT3_T2_PKS4_S6_PKS3_PKT1_21rocsparse_index_base_S6_S6_S8_PS9_SC_S6_S6_S8_SD_SC_SD_PNS_15floating_traitsIS9_E6data_tEPKSG_.has_dyn_sized_stack, 0
	.set _ZN9rocsparseL17kernel_correctionILi1024ELi1E21rocsparse_complex_numIdEiiEEvT3_T2_PKS4_S6_PKS3_PKT1_21rocsparse_index_base_S6_S6_S8_PS9_SC_S6_S6_S8_SD_SC_SD_PNS_15floating_traitsIS9_E6data_tEPKSG_.has_recursion, 0
	.set _ZN9rocsparseL17kernel_correctionILi1024ELi1E21rocsparse_complex_numIdEiiEEvT3_T2_PKS4_S6_PKS3_PKT1_21rocsparse_index_base_S6_S6_S8_PS9_SC_S6_S6_S8_SD_SC_SD_PNS_15floating_traitsIS9_E6data_tEPKSG_.has_indirect_call, 0
	.section	.AMDGPU.csdata,"",@progbits
; Kernel info:
; codeLenInByte = 4840
; TotalNumSgprs: 54
; NumVgprs: 46
; ScratchSize: 0
; MemoryBound: 1
; FloatMode: 240
; IeeeMode: 1
; LDSByteSize: 8192 bytes/workgroup (compile time only)
; SGPRBlocks: 0
; VGPRBlocks: 5
; NumSGPRsForWavesPerEU: 54
; NumVGPRsForWavesPerEU: 46
; Occupancy: 16
; WaveLimiterHint : 1
; COMPUTE_PGM_RSRC2:SCRATCH_EN: 0
; COMPUTE_PGM_RSRC2:USER_SGPR: 6
; COMPUTE_PGM_RSRC2:TRAP_HANDLER: 0
; COMPUTE_PGM_RSRC2:TGID_X_EN: 1
; COMPUTE_PGM_RSRC2:TGID_Y_EN: 0
; COMPUTE_PGM_RSRC2:TGID_Z_EN: 0
; COMPUTE_PGM_RSRC2:TIDIG_COMP_CNT: 0
	.section	.text._ZN9rocsparseL17kernel_correctionILi1024ELi2E21rocsparse_complex_numIdEiiEEvT3_T2_PKS4_S6_PKS3_PKT1_21rocsparse_index_base_S6_S6_S8_PS9_SC_S6_S6_S8_SD_SC_SD_PNS_15floating_traitsIS9_E6data_tEPKSG_,"axG",@progbits,_ZN9rocsparseL17kernel_correctionILi1024ELi2E21rocsparse_complex_numIdEiiEEvT3_T2_PKS4_S6_PKS3_PKT1_21rocsparse_index_base_S6_S6_S8_PS9_SC_S6_S6_S8_SD_SC_SD_PNS_15floating_traitsIS9_E6data_tEPKSG_,comdat
	.globl	_ZN9rocsparseL17kernel_correctionILi1024ELi2E21rocsparse_complex_numIdEiiEEvT3_T2_PKS4_S6_PKS3_PKT1_21rocsparse_index_base_S6_S6_S8_PS9_SC_S6_S6_S8_SD_SC_SD_PNS_15floating_traitsIS9_E6data_tEPKSG_ ; -- Begin function _ZN9rocsparseL17kernel_correctionILi1024ELi2E21rocsparse_complex_numIdEiiEEvT3_T2_PKS4_S6_PKS3_PKT1_21rocsparse_index_base_S6_S6_S8_PS9_SC_S6_S6_S8_SD_SC_SD_PNS_15floating_traitsIS9_E6data_tEPKSG_
	.p2align	8
	.type	_ZN9rocsparseL17kernel_correctionILi1024ELi2E21rocsparse_complex_numIdEiiEEvT3_T2_PKS4_S6_PKS3_PKT1_21rocsparse_index_base_S6_S6_S8_PS9_SC_S6_S6_S8_SD_SC_SD_PNS_15floating_traitsIS9_E6data_tEPKSG_,@function
_ZN9rocsparseL17kernel_correctionILi1024ELi2E21rocsparse_complex_numIdEiiEEvT3_T2_PKS4_S6_PKS3_PKT1_21rocsparse_index_base_S6_S6_S8_PS9_SC_S6_S6_S8_SD_SC_SD_PNS_15floating_traitsIS9_E6data_tEPKSG_: ; @_ZN9rocsparseL17kernel_correctionILi1024ELi2E21rocsparse_complex_numIdEiiEEvT3_T2_PKS4_S6_PKS3_PKT1_21rocsparse_index_base_S6_S6_S8_PS9_SC_S6_S6_S8_SD_SC_SD_PNS_15floating_traitsIS9_E6data_tEPKSG_
; %bb.0:
	s_load_dword s33, s[4:5], 0x0
	v_lshrrev_b32_e32 v28, 1, v0
	s_lshl_b32 s35, s6, 10
	v_mov_b32_e32 v7, 0
	v_and_b32_e32 v29, 1, v0
	v_mov_b32_e32 v8, 0
	v_or_b32_e32 v5, s35, v28
	s_mov_b32 s3, exec_lo
	s_waitcnt lgkmcnt(0)
	v_cmpx_gt_i32_e64 s33, v5
	s_cbranch_execz .LBB50_81
; %bb.1:
	v_mov_b32_e32 v7, 0
	v_mov_b32_e32 v8, 0
	s_addk_i32 s35, 0x400
	s_mov_b32 s34, exec_lo
	v_cmpx_gt_u32_e64 s35, v5
	s_cbranch_execz .LBB50_80
; %bb.2:
	s_clause 0x6
	s_load_dword s36, s[4:5], 0x28
	s_load_dwordx8 s[8:15], s[4:5], 0x58
	s_load_dwordx8 s[16:23], s[4:5], 0x30
	;; [unrolled: 1-line block ×3, first 2 shown]
	s_load_dword s37, s[4:5], 0x50
	s_load_dwordx2 s[6:7], s[4:5], 0x80
	s_load_dword s38, s[4:5], 0x78
	v_mov_b32_e32 v7, 0
	v_mov_b32_e32 v8, 0
	;; [unrolled: 1-line block ×3, first 2 shown]
	s_mov_b32 s39, 0
	s_waitcnt lgkmcnt(0)
	v_subrev_nc_u32_e32 v30, s36, v29
	s_branch .LBB50_6
.LBB50_3:                               ;   in Loop: Header=BB50_6 Depth=1
	s_or_b32 exec_lo, exec_lo, s42
.LBB50_4:                               ;   in Loop: Header=BB50_6 Depth=1
	s_or_b32 exec_lo, exec_lo, s41
.LBB50_5:                               ;   in Loop: Header=BB50_6 Depth=1
	s_or_b32 exec_lo, exec_lo, s40
	v_add_nc_u32_e32 v5, 0x200, v5
	v_cmp_le_u32_e32 vcc_lo, s35, v5
	s_or_b32 s39, vcc_lo, s39
	s_andn2_b32 exec_lo, exec_lo, s39
	s_cbranch_execz .LBB50_79
.LBB50_6:                               ; =>This Loop Header: Depth=1
                                        ;     Child Loop BB50_10 Depth 2
                                        ;       Child Loop BB50_14 Depth 3
                                        ;       Child Loop BB50_36 Depth 3
	;; [unrolled: 1-line block ×5, first 2 shown]
	s_mov_b32 s40, exec_lo
	v_cmpx_gt_i32_e64 s33, v5
	s_cbranch_execz .LBB50_5
; %bb.7:                                ;   in Loop: Header=BB50_6 Depth=1
	v_ashrrev_i32_e32 v6, 31, v5
	s_mov_b32 s41, exec_lo
	v_lshlrev_b64 v[1:2], 2, v[5:6]
	v_add_co_u32 v3, vcc_lo, s24, v1
	v_add_co_ci_u32_e64 v4, null, s25, v2, vcc_lo
	v_add_co_u32 v11, vcc_lo, s26, v1
	v_add_co_ci_u32_e64 v12, null, s27, v2, vcc_lo
	global_load_dword v3, v[3:4], off
	global_load_dword v4, v[11:12], off
	s_waitcnt vmcnt(1)
	v_add_nc_u32_e32 v11, v30, v3
	s_waitcnt vmcnt(0)
	v_subrev_nc_u32_e32 v6, s36, v4
	v_cmpx_lt_i32_e64 v11, v6
	s_cbranch_execz .LBB50_4
; %bb.8:                                ;   in Loop: Header=BB50_6 Depth=1
	v_add_co_u32 v3, vcc_lo, s16, v1
	v_add_co_ci_u32_e64 v4, null, s17, v2, vcc_lo
	v_add_co_u32 v1, vcc_lo, s18, v1
	v_add_co_ci_u32_e64 v2, null, s19, v2, vcc_lo
	global_load_dword v3, v[3:4], off
	s_mov_b32 s42, 0
	global_load_dword v4, v[1:2], off
	s_waitcnt vmcnt(1)
	v_subrev_nc_u32_e32 v13, s37, v3
	s_waitcnt vmcnt(0)
	v_sub_nc_u32_e32 v31, v4, v3
	v_ashrrev_i32_e32 v14, 31, v13
	v_cmp_lt_i32_e64 s0, 0, v31
	v_lshlrev_b64 v[1:2], 2, v[13:14]
	v_lshlrev_b64 v[3:4], 4, v[13:14]
	v_add_co_u32 v32, vcc_lo, s20, v1
	v_add_co_ci_u32_e64 v33, null, s21, v2, vcc_lo
	v_add_co_u32 v34, vcc_lo, s22, v3
	v_add_co_ci_u32_e64 v35, null, s23, v4, vcc_lo
	s_branch .LBB50_10
.LBB50_9:                               ;   in Loop: Header=BB50_10 Depth=2
	s_or_b32 exec_lo, exec_lo, s43
	v_cmp_nlg_f64_e64 s2, 0x7ff00000, |v[1:2]|
	v_cmp_gt_f64_e32 vcc_lo, v[7:8], v[1:2]
	v_add_nc_u32_e32 v11, 2, v11
	v_cmp_ge_i32_e64 s1, v11, v6
	s_or_b32 vcc_lo, s2, vcc_lo
	s_or_b32 s42, s1, s42
	v_cndmask_b32_e32 v8, v2, v8, vcc_lo
	v_cndmask_b32_e32 v7, v1, v7, vcc_lo
	s_andn2_b32 exec_lo, exec_lo, s42
	s_cbranch_execz .LBB50_3
.LBB50_10:                              ;   Parent Loop BB50_6 Depth=1
                                        ; =>  This Loop Header: Depth=2
                                        ;       Child Loop BB50_14 Depth 3
                                        ;       Child Loop BB50_36 Depth 3
	;; [unrolled: 1-line block ×5, first 2 shown]
	v_ashrrev_i32_e32 v12, 31, v11
	v_mov_b32_e32 v9, 0
	v_mov_b32_e32 v22, 0
	;; [unrolled: 1-line block ×4, first 2 shown]
	v_lshlrev_b64 v[1:2], 2, v[11:12]
	v_mov_b32_e32 v25, 0
	v_mov_b32_e32 v19, v9
	v_add_co_u32 v1, vcc_lo, s28, v1
	v_add_co_ci_u32_e64 v2, null, s29, v2, vcc_lo
	global_load_dword v1, v[1:2], off
	s_waitcnt vmcnt(0)
	v_subrev_nc_u32_e32 v14, s36, v1
	v_ashrrev_i32_e32 v15, 31, v14
	v_lshlrev_b64 v[1:2], 2, v[14:15]
	v_add_co_u32 v3, vcc_lo, s8, v1
	v_add_co_ci_u32_e64 v4, null, s9, v2, vcc_lo
	v_add_co_u32 v1, vcc_lo, s10, v1
	v_add_co_ci_u32_e64 v2, null, s11, v2, vcc_lo
	global_load_dword v3, v[3:4], off
	global_load_dword v1, v[1:2], off
	s_waitcnt vmcnt(1)
	v_subrev_nc_u32_e32 v18, s38, v3
	s_waitcnt vmcnt(0)
	v_sub_nc_u32_e32 v36, v1, v3
	s_and_saveexec_b32 s2, s0
	s_cbranch_execz .LBB50_18
; %bb.11:                               ;   in Loop: Header=BB50_10 Depth=2
	v_ashrrev_i32_e32 v19, 31, v18
	v_mov_b32_e32 v22, 0
	v_mov_b32_e32 v24, 0
	;; [unrolled: 1-line block ×4, first 2 shown]
	v_lshlrev_b64 v[1:2], 2, v[18:19]
	v_lshlrev_b64 v[3:4], 4, v[18:19]
	v_mov_b32_e32 v19, 0
	v_mov_b32_e32 v9, 0
	s_mov_b32 s43, 0
                                        ; implicit-def: $sgpr44
	v_add_co_u32 v1, vcc_lo, s12, v1
	v_add_co_ci_u32_e64 v2, null, s13, v2, vcc_lo
	v_add_co_u32 v3, vcc_lo, s14, v3
	v_add_co_ci_u32_e64 v4, null, s15, v4, vcc_lo
	s_branch .LBB50_14
.LBB50_12:                              ;   in Loop: Header=BB50_14 Depth=3
	s_or_b32 exec_lo, exec_lo, s1
	v_cmp_le_i32_e32 vcc_lo, v16, v17
	v_cmp_ge_i32_e64 s1, v16, v17
	v_add_co_ci_u32_e64 v9, null, 0, v9, vcc_lo
	v_add_co_ci_u32_e64 v19, null, 0, v19, s1
	s_andn2_b32 s1, s44, exec_lo
	v_cmp_ge_i32_e32 vcc_lo, v9, v31
	s_and_b32 s44, vcc_lo, exec_lo
	s_or_b32 s44, s1, s44
.LBB50_13:                              ;   in Loop: Header=BB50_14 Depth=3
	s_or_b32 exec_lo, exec_lo, s45
	s_and_b32 s1, exec_lo, s44
	s_or_b32 s43, s1, s43
	s_andn2_b32 exec_lo, exec_lo, s43
	s_cbranch_execz .LBB50_17
.LBB50_14:                              ;   Parent Loop BB50_6 Depth=1
                                        ;     Parent Loop BB50_10 Depth=2
                                        ; =>    This Inner Loop Header: Depth=3
	s_or_b32 s44, s44, exec_lo
	s_mov_b32 s45, exec_lo
	v_cmpx_lt_i32_e64 v19, v36
	s_cbranch_execz .LBB50_13
; %bb.15:                               ;   in Loop: Header=BB50_14 Depth=3
	v_mov_b32_e32 v20, v10
	v_lshlrev_b64 v[16:17], 2, v[9:10]
	s_mov_b32 s1, exec_lo
	v_lshlrev_b64 v[26:27], 2, v[19:20]
	v_add_co_u32 v16, vcc_lo, v32, v16
	v_add_co_ci_u32_e64 v17, null, v33, v17, vcc_lo
	v_add_co_u32 v26, vcc_lo, v1, v26
	v_add_co_ci_u32_e64 v27, null, v2, v27, vcc_lo
	global_load_dword v16, v[16:17], off
	global_load_dword v17, v[26:27], off
	s_waitcnt vmcnt(1)
	v_subrev_nc_u32_e32 v16, s37, v16
	s_waitcnt vmcnt(0)
	v_subrev_nc_u32_e32 v17, s38, v17
	v_cmpx_eq_u32_e64 v16, v17
	s_cbranch_execz .LBB50_12
; %bb.16:                               ;   in Loop: Header=BB50_14 Depth=3
	v_lshlrev_b64 v[26:27], 4, v[9:10]
	v_lshlrev_b64 v[20:21], 4, v[19:20]
	v_add_co_u32 v26, vcc_lo, v34, v26
	v_add_co_ci_u32_e64 v27, null, v35, v27, vcc_lo
	v_add_co_u32 v20, vcc_lo, v3, v20
	v_add_co_ci_u32_e64 v21, null, v4, v21, vcc_lo
	global_load_dwordx4 v[37:40], v[26:27], off
	global_load_dwordx4 v[41:44], v[20:21], off
	s_waitcnt vmcnt(0)
	v_fma_f64 v[20:21], v[37:38], v[41:42], v[22:23]
	v_fma_f64 v[24:25], v[39:40], v[41:42], v[24:25]
	v_fma_f64 v[22:23], -v[39:40], v[43:44], v[20:21]
	v_fma_f64 v[24:25], v[37:38], v[43:44], v[24:25]
	s_branch .LBB50_12
.LBB50_17:                              ;   in Loop: Header=BB50_10 Depth=2
	s_or_b32 exec_lo, exec_lo, s43
.LBB50_18:                              ;   in Loop: Header=BB50_10 Depth=2
	s_or_b32 exec_lo, exec_lo, s2
	v_lshlrev_b64 v[1:2], 4, v[11:12]
	v_cmp_le_i32_e64 s2, v5, v14
	s_mov_b32 s1, exec_lo
	v_add_co_u32 v1, vcc_lo, s30, v1
	v_add_co_ci_u32_e64 v2, null, s31, v2, vcc_lo
	global_load_dwordx4 v[1:4], v[1:2], off
	s_waitcnt vmcnt(0)
	v_add_f64 v[20:21], v[1:2], -v[22:23]
	v_add_f64 v[16:17], v[3:4], -v[24:25]
	v_cmpx_gt_i32_e64 v5, v14
	s_cbranch_execz .LBB50_20
; %bb.19:                               ;   in Loop: Header=BB50_10 Depth=2
	v_lshlrev_b64 v[26:27], 4, v[14:15]
	v_add_co_u32 v26, vcc_lo, s6, v26
	v_add_co_ci_u32_e64 v27, null, s7, v27, vcc_lo
	global_load_dwordx4 v[37:40], v[26:27], off
	s_waitcnt vmcnt(0)
	v_mul_f64 v[26:27], v[39:40], v[39:40]
	v_fma_f64 v[26:27], v[37:38], v[37:38], v[26:27]
	v_div_scale_f64 v[41:42], null, v[26:27], v[26:27], 1.0
	v_div_scale_f64 v[47:48], vcc_lo, 1.0, v[26:27], 1.0
	v_rcp_f64_e32 v[43:44], v[41:42]
	v_fma_f64 v[45:46], -v[41:42], v[43:44], 1.0
	v_fma_f64 v[43:44], v[43:44], v[45:46], v[43:44]
	v_fma_f64 v[45:46], -v[41:42], v[43:44], 1.0
	v_fma_f64 v[43:44], v[43:44], v[45:46], v[43:44]
	v_mul_f64 v[45:46], v[47:48], v[43:44]
	v_fma_f64 v[41:42], -v[41:42], v[45:46], v[47:48]
	v_div_fmas_f64 v[41:42], v[41:42], v[43:44], v[45:46]
	v_mul_f64 v[43:44], v[16:17], v[39:40]
	v_mul_f64 v[39:40], v[39:40], -v[20:21]
	v_div_fixup_f64 v[26:27], v[41:42], v[26:27], 1.0
	v_fma_f64 v[20:21], v[20:21], v[37:38], v[43:44]
	v_fma_f64 v[16:17], v[16:17], v[37:38], v[39:40]
	v_mul_f64 v[20:21], v[20:21], v[26:27]
	v_mul_f64 v[16:17], v[16:17], v[26:27]
.LBB50_20:                              ;   in Loop: Header=BB50_10 Depth=2
	s_or_b32 exec_lo, exec_lo, s1
	v_cmp_lt_i32_e64 s1, v19, v36
	s_mov_b32 s43, exec_lo
	v_cmpx_ge_i32_e64 v19, v36
	s_xor_b32 s43, exec_lo, s43
	s_cbranch_execnz .LBB50_33
; %bb.21:                               ;   in Loop: Header=BB50_10 Depth=2
	s_andn2_saveexec_b32 s43, s43
	s_cbranch_execnz .LBB50_49
.LBB50_22:                              ;   in Loop: Header=BB50_10 Depth=2
	s_or_b32 exec_lo, exec_lo, s43
	s_mov_b32 s43, exec_lo
	v_cmpx_eq_u32_e64 v5, v14
	s_cbranch_execz .LBB50_24
.LBB50_23:                              ;   in Loop: Header=BB50_10 Depth=2
	v_lshlrev_b64 v[26:27], 4, v[14:15]
	v_add_co_u32 v26, vcc_lo, s6, v26
	v_add_co_ci_u32_e64 v27, null, s7, v27, vcc_lo
	global_load_dwordx4 v[37:40], v[26:27], off
	s_waitcnt vmcnt(0)
	v_add_f64 v[22:23], v[22:23], v[37:38]
	v_add_f64 v[24:25], v[24:25], v[39:40]
.LBB50_24:                              ;   in Loop: Header=BB50_10 Depth=2
	s_or_b32 exec_lo, exec_lo, s43
	v_add_f64 v[22:23], v[1:2], -v[22:23]
	v_add_f64 v[24:25], v[3:4], -v[24:25]
	s_mov_b32 s43, exec_lo
	v_cmp_gt_f64_e32 vcc_lo, 0, v[22:23]
	v_xor_b32_e32 v1, 0x80000000, v23
	v_xor_b32_e32 v2, 0x80000000, v25
	v_mov_b32_e32 v3, v24
	v_cndmask_b32_e32 v23, v23, v1, vcc_lo
	v_cmp_gt_f64_e32 vcc_lo, 0, v[24:25]
	v_cndmask_b32_e32 v4, v25, v2, vcc_lo
                                        ; implicit-def: $vgpr1_vgpr2
	v_cmpx_ngt_f64_e32 v[22:23], v[3:4]
	s_xor_b32 s43, exec_lo, s43
	s_cbranch_execz .LBB50_28
; %bb.25:                               ;   in Loop: Header=BB50_10 Depth=2
	v_mov_b32_e32 v1, 0
	v_mov_b32_e32 v2, 0
	s_mov_b32 s44, exec_lo
	v_cmpx_neq_f64_e32 0, v[24:25]
	s_cbranch_execz .LBB50_27
; %bb.26:                               ;   in Loop: Header=BB50_10 Depth=2
	v_div_scale_f64 v[1:2], null, v[3:4], v[3:4], v[22:23]
	v_div_scale_f64 v[37:38], vcc_lo, v[22:23], v[3:4], v[22:23]
	v_rcp_f64_e32 v[24:25], v[1:2]
	v_fma_f64 v[26:27], -v[1:2], v[24:25], 1.0
	v_fma_f64 v[24:25], v[24:25], v[26:27], v[24:25]
	v_fma_f64 v[26:27], -v[1:2], v[24:25], 1.0
	v_fma_f64 v[24:25], v[24:25], v[26:27], v[24:25]
	v_mul_f64 v[26:27], v[37:38], v[24:25]
	v_fma_f64 v[1:2], -v[1:2], v[26:27], v[37:38]
	v_div_fmas_f64 v[1:2], v[1:2], v[24:25], v[26:27]
	v_div_fixup_f64 v[1:2], v[1:2], v[3:4], v[22:23]
	v_fma_f64 v[1:2], v[1:2], v[1:2], 1.0
	v_cmp_gt_f64_e32 vcc_lo, 0x10000000, v[1:2]
	v_cndmask_b32_e64 v12, 0, 0x100, vcc_lo
	v_ldexp_f64 v[1:2], v[1:2], v12
	v_cndmask_b32_e64 v12, 0, 0xffffff80, vcc_lo
	v_rsq_f64_e32 v[22:23], v[1:2]
	v_cmp_class_f64_e64 vcc_lo, v[1:2], 0x260
	v_mul_f64 v[24:25], v[1:2], v[22:23]
	v_mul_f64 v[22:23], v[22:23], 0.5
	v_fma_f64 v[26:27], -v[22:23], v[24:25], 0.5
	v_fma_f64 v[24:25], v[24:25], v[26:27], v[24:25]
	v_fma_f64 v[22:23], v[22:23], v[26:27], v[22:23]
	v_fma_f64 v[26:27], -v[24:25], v[24:25], v[1:2]
	v_fma_f64 v[24:25], v[26:27], v[22:23], v[24:25]
	v_fma_f64 v[26:27], -v[24:25], v[24:25], v[1:2]
	v_fma_f64 v[22:23], v[26:27], v[22:23], v[24:25]
	v_ldexp_f64 v[22:23], v[22:23], v12
	v_cndmask_b32_e32 v2, v23, v2, vcc_lo
	v_cndmask_b32_e32 v1, v22, v1, vcc_lo
	v_mul_f64 v[1:2], v[3:4], v[1:2]
.LBB50_27:                              ;   in Loop: Header=BB50_10 Depth=2
	s_or_b32 exec_lo, exec_lo, s44
                                        ; implicit-def: $vgpr22_vgpr23
                                        ; implicit-def: $vgpr3_vgpr4
.LBB50_28:                              ;   in Loop: Header=BB50_10 Depth=2
	s_andn2_saveexec_b32 s43, s43
	s_cbranch_execz .LBB50_30
; %bb.29:                               ;   in Loop: Header=BB50_10 Depth=2
	v_div_scale_f64 v[1:2], null, v[22:23], v[22:23], v[3:4]
	v_div_scale_f64 v[37:38], vcc_lo, v[3:4], v[22:23], v[3:4]
	v_rcp_f64_e32 v[24:25], v[1:2]
	v_fma_f64 v[26:27], -v[1:2], v[24:25], 1.0
	v_fma_f64 v[24:25], v[24:25], v[26:27], v[24:25]
	v_fma_f64 v[26:27], -v[1:2], v[24:25], 1.0
	v_fma_f64 v[24:25], v[24:25], v[26:27], v[24:25]
	v_mul_f64 v[26:27], v[37:38], v[24:25]
	v_fma_f64 v[1:2], -v[1:2], v[26:27], v[37:38]
	v_div_fmas_f64 v[1:2], v[1:2], v[24:25], v[26:27]
	v_div_fixup_f64 v[1:2], v[1:2], v[22:23], v[3:4]
	v_fma_f64 v[1:2], v[1:2], v[1:2], 1.0
	v_cmp_gt_f64_e32 vcc_lo, 0x10000000, v[1:2]
	v_cndmask_b32_e64 v3, 0, 0x100, vcc_lo
	v_cndmask_b32_e64 v12, 0, 0xffffff80, vcc_lo
	v_ldexp_f64 v[1:2], v[1:2], v3
	v_rsq_f64_e32 v[3:4], v[1:2]
	v_cmp_class_f64_e64 vcc_lo, v[1:2], 0x260
	v_mul_f64 v[24:25], v[1:2], v[3:4]
	v_mul_f64 v[3:4], v[3:4], 0.5
	v_fma_f64 v[26:27], -v[3:4], v[24:25], 0.5
	v_fma_f64 v[24:25], v[24:25], v[26:27], v[24:25]
	v_fma_f64 v[3:4], v[3:4], v[26:27], v[3:4]
	v_fma_f64 v[26:27], -v[24:25], v[24:25], v[1:2]
	v_fma_f64 v[24:25], v[26:27], v[3:4], v[24:25]
	v_fma_f64 v[26:27], -v[24:25], v[24:25], v[1:2]
	v_fma_f64 v[3:4], v[26:27], v[3:4], v[24:25]
	v_ldexp_f64 v[3:4], v[3:4], v12
	v_cndmask_b32_e32 v2, v4, v2, vcc_lo
	v_cndmask_b32_e32 v1, v3, v1, vcc_lo
	v_mul_f64 v[1:2], v[22:23], v[1:2]
.LBB50_30:                              ;   in Loop: Header=BB50_10 Depth=2
	s_or_b32 exec_lo, exec_lo, s43
	v_cmp_gt_f64_e32 vcc_lo, 0, v[20:21]
	v_xor_b32_e32 v4, 0x80000000, v21
	v_xor_b32_e32 v12, 0x80000000, v17
	v_mov_b32_e32 v3, v20
	v_mov_b32_e32 v22, v16
	s_mov_b32 s43, exec_lo
                                        ; implicit-def: $vgpr24_vgpr25
	v_cndmask_b32_e32 v4, v21, v4, vcc_lo
	v_cmp_gt_f64_e32 vcc_lo, 0, v[16:17]
	v_cndmask_b32_e32 v23, v17, v12, vcc_lo
	v_cmpx_ngt_f64_e32 v[3:4], v[22:23]
	s_xor_b32 s43, exec_lo, s43
	s_cbranch_execnz .LBB50_38
; %bb.31:                               ;   in Loop: Header=BB50_10 Depth=2
	s_andn2_saveexec_b32 s43, s43
	s_cbranch_execnz .LBB50_41
.LBB50_32:                              ;   in Loop: Header=BB50_10 Depth=2
	s_or_b32 exec_lo, exec_lo, s43
	v_cmp_class_f64_e64 s44, v[24:25], 0x1f8
	s_and_saveexec_b32 s43, s44
	s_cbranch_execz .LBB50_9
	s_branch .LBB50_42
.LBB50_33:                              ;   in Loop: Header=BB50_10 Depth=2
	s_mov_b32 s44, exec_lo
	v_cmpx_lt_i32_e64 v9, v31
	s_cbranch_execz .LBB50_48
; %bb.34:                               ;   in Loop: Header=BB50_10 Depth=2
	v_mov_b32_e32 v12, v9
	s_mov_b32 s46, 0
                                        ; implicit-def: $sgpr45
                                        ; implicit-def: $sgpr48
                                        ; implicit-def: $sgpr47
	s_inst_prefetch 0x1
	s_branch .LBB50_36
	.p2align	6
.LBB50_35:                              ;   in Loop: Header=BB50_36 Depth=3
	s_or_b32 exec_lo, exec_lo, s49
	s_and_b32 s49, exec_lo, s48
	s_or_b32 s46, s49, s46
	s_andn2_b32 s45, s45, exec_lo
	s_and_b32 s49, s47, exec_lo
	s_or_b32 s45, s45, s49
	s_andn2_b32 exec_lo, exec_lo, s46
	s_cbranch_execz .LBB50_45
.LBB50_36:                              ;   Parent Loop BB50_6 Depth=1
                                        ;     Parent Loop BB50_10 Depth=2
                                        ; =>    This Inner Loop Header: Depth=3
	v_add_nc_u32_e32 v26, v13, v12
	s_or_b32 s47, s47, exec_lo
	s_or_b32 s48, s48, exec_lo
	s_mov_b32 s49, exec_lo
	v_ashrrev_i32_e32 v27, 31, v26
	v_lshlrev_b64 v[37:38], 2, v[26:27]
	v_add_co_u32 v37, vcc_lo, s20, v37
	v_add_co_ci_u32_e64 v38, null, s21, v38, vcc_lo
	global_load_dword v37, v[37:38], off
	s_waitcnt vmcnt(0)
	v_subrev_nc_u32_e32 v37, s37, v37
	v_cmpx_ne_u32_e64 v37, v14
	s_cbranch_execz .LBB50_35
; %bb.37:                               ;   in Loop: Header=BB50_36 Depth=3
	v_add_nc_u32_e32 v12, 1, v12
	s_andn2_b32 s48, s48, exec_lo
	s_andn2_b32 s47, s47, exec_lo
	v_cmp_ge_i32_e32 vcc_lo, v12, v31
	s_and_b32 s50, vcc_lo, exec_lo
	s_or_b32 s48, s48, s50
	s_branch .LBB50_35
.LBB50_38:                              ;   in Loop: Header=BB50_10 Depth=2
	v_mov_b32_e32 v24, 0
	v_mov_b32_e32 v25, 0
	s_mov_b32 s44, exec_lo
	v_cmpx_neq_f64_e32 0, v[16:17]
	s_cbranch_execz .LBB50_40
; %bb.39:                               ;   in Loop: Header=BB50_10 Depth=2
	v_div_scale_f64 v[24:25], null, v[22:23], v[22:23], v[3:4]
	v_div_scale_f64 v[39:40], vcc_lo, v[3:4], v[22:23], v[3:4]
	v_rcp_f64_e32 v[26:27], v[24:25]
	v_fma_f64 v[37:38], -v[24:25], v[26:27], 1.0
	v_fma_f64 v[26:27], v[26:27], v[37:38], v[26:27]
	v_fma_f64 v[37:38], -v[24:25], v[26:27], 1.0
	v_fma_f64 v[26:27], v[26:27], v[37:38], v[26:27]
	v_mul_f64 v[37:38], v[39:40], v[26:27]
	v_fma_f64 v[24:25], -v[24:25], v[37:38], v[39:40]
	v_div_fmas_f64 v[24:25], v[24:25], v[26:27], v[37:38]
	v_div_fixup_f64 v[3:4], v[24:25], v[22:23], v[3:4]
	v_fma_f64 v[3:4], v[3:4], v[3:4], 1.0
	v_cmp_gt_f64_e32 vcc_lo, 0x10000000, v[3:4]
	v_cndmask_b32_e64 v12, 0, 0x100, vcc_lo
	v_ldexp_f64 v[3:4], v[3:4], v12
	v_cndmask_b32_e64 v12, 0, 0xffffff80, vcc_lo
	v_rsq_f64_e32 v[24:25], v[3:4]
	v_cmp_class_f64_e64 vcc_lo, v[3:4], 0x260
	v_mul_f64 v[26:27], v[3:4], v[24:25]
	v_mul_f64 v[24:25], v[24:25], 0.5
	v_fma_f64 v[37:38], -v[24:25], v[26:27], 0.5
	v_fma_f64 v[26:27], v[26:27], v[37:38], v[26:27]
	v_fma_f64 v[24:25], v[24:25], v[37:38], v[24:25]
	v_fma_f64 v[37:38], -v[26:27], v[26:27], v[3:4]
	v_fma_f64 v[26:27], v[37:38], v[24:25], v[26:27]
	v_fma_f64 v[37:38], -v[26:27], v[26:27], v[3:4]
	v_fma_f64 v[24:25], v[37:38], v[24:25], v[26:27]
	v_ldexp_f64 v[24:25], v[24:25], v12
	v_cndmask_b32_e32 v4, v25, v4, vcc_lo
	v_cndmask_b32_e32 v3, v24, v3, vcc_lo
	v_mul_f64 v[24:25], v[22:23], v[3:4]
.LBB50_40:                              ;   in Loop: Header=BB50_10 Depth=2
	s_or_b32 exec_lo, exec_lo, s44
                                        ; implicit-def: $vgpr3_vgpr4
                                        ; implicit-def: $vgpr22_vgpr23
	s_andn2_saveexec_b32 s43, s43
	s_cbranch_execz .LBB50_32
.LBB50_41:                              ;   in Loop: Header=BB50_10 Depth=2
	v_div_scale_f64 v[24:25], null, v[3:4], v[3:4], v[22:23]
	v_div_scale_f64 v[39:40], vcc_lo, v[22:23], v[3:4], v[22:23]
	v_rcp_f64_e32 v[26:27], v[24:25]
	v_fma_f64 v[37:38], -v[24:25], v[26:27], 1.0
	v_fma_f64 v[26:27], v[26:27], v[37:38], v[26:27]
	v_fma_f64 v[37:38], -v[24:25], v[26:27], 1.0
	v_fma_f64 v[26:27], v[26:27], v[37:38], v[26:27]
	v_mul_f64 v[37:38], v[39:40], v[26:27]
	v_fma_f64 v[24:25], -v[24:25], v[37:38], v[39:40]
	v_div_fmas_f64 v[24:25], v[24:25], v[26:27], v[37:38]
	v_div_fixup_f64 v[22:23], v[24:25], v[3:4], v[22:23]
	v_fma_f64 v[22:23], v[22:23], v[22:23], 1.0
	v_cmp_gt_f64_e32 vcc_lo, 0x10000000, v[22:23]
	v_cndmask_b32_e64 v12, 0, 0x100, vcc_lo
	v_ldexp_f64 v[22:23], v[22:23], v12
	v_cndmask_b32_e64 v12, 0, 0xffffff80, vcc_lo
	v_rsq_f64_e32 v[24:25], v[22:23]
	v_cmp_class_f64_e64 vcc_lo, v[22:23], 0x260
	v_mul_f64 v[26:27], v[22:23], v[24:25]
	v_mul_f64 v[24:25], v[24:25], 0.5
	v_fma_f64 v[37:38], -v[24:25], v[26:27], 0.5
	v_fma_f64 v[26:27], v[26:27], v[37:38], v[26:27]
	v_fma_f64 v[24:25], v[24:25], v[37:38], v[24:25]
	v_fma_f64 v[37:38], -v[26:27], v[26:27], v[22:23]
	v_fma_f64 v[26:27], v[37:38], v[24:25], v[26:27]
	v_fma_f64 v[37:38], -v[26:27], v[26:27], v[22:23]
	v_fma_f64 v[24:25], v[37:38], v[24:25], v[26:27]
	v_ldexp_f64 v[24:25], v[24:25], v12
	v_cndmask_b32_e32 v23, v25, v23, vcc_lo
	v_cndmask_b32_e32 v22, v24, v22, vcc_lo
	v_mul_f64 v[24:25], v[3:4], v[22:23]
	s_or_b32 exec_lo, exec_lo, s43
	v_cmp_class_f64_e64 s44, v[24:25], 0x1f8
	s_and_saveexec_b32 s43, s44
	s_cbranch_execz .LBB50_9
.LBB50_42:                              ;   in Loop: Header=BB50_10 Depth=2
	s_mov_b32 s44, 0
                                        ; implicit-def: $vgpr3_vgpr4
	s_and_saveexec_b32 s45, s2
	s_xor_b32 s2, exec_lo, s45
	s_cbranch_execnz .LBB50_56
; %bb.43:                               ;   in Loop: Header=BB50_10 Depth=2
	s_andn2_saveexec_b32 s1, s2
	s_cbranch_execnz .LBB50_69
.LBB50_44:                              ;   in Loop: Header=BB50_10 Depth=2
	s_or_b32 exec_lo, exec_lo, s1
	s_and_b32 exec_lo, exec_lo, s44
	s_cbranch_execz .LBB50_9
	s_branch .LBB50_78
.LBB50_45:                              ;   in Loop: Header=BB50_10 Depth=2
	s_inst_prefetch 0x2
	s_or_b32 exec_lo, exec_lo, s46
	s_and_saveexec_b32 s46, s45
	s_xor_b32 s45, exec_lo, s46
	s_cbranch_execz .LBB50_47
; %bb.46:                               ;   in Loop: Header=BB50_10 Depth=2
	v_lshlrev_b64 v[37:38], 4, v[14:15]
	v_lshlrev_b64 v[26:27], 4, v[26:27]
	v_add_co_u32 v37, vcc_lo, s6, v37
	v_add_co_ci_u32_e64 v38, null, s7, v38, vcc_lo
	v_add_co_u32 v26, vcc_lo, s22, v26
	v_add_co_ci_u32_e64 v27, null, s23, v27, vcc_lo
	global_load_dwordx4 v[37:40], v[37:38], off
	global_load_dwordx4 v[41:44], v[26:27], off
	s_waitcnt vmcnt(0)
	v_mul_f64 v[26:27], v[39:40], -v[43:44]
	v_mul_f64 v[39:40], v[39:40], v[41:42]
	v_fma_f64 v[26:27], v[41:42], v[37:38], v[26:27]
	v_fma_f64 v[37:38], v[43:44], v[37:38], v[39:40]
	v_add_f64 v[22:23], v[22:23], v[26:27]
	v_add_f64 v[24:25], v[24:25], v[37:38]
.LBB50_47:                              ;   in Loop: Header=BB50_10 Depth=2
	s_or_b32 exec_lo, exec_lo, s45
.LBB50_48:                              ;   in Loop: Header=BB50_10 Depth=2
	s_or_b32 exec_lo, exec_lo, s44
	s_andn2_saveexec_b32 s43, s43
	s_cbranch_execz .LBB50_22
.LBB50_49:                              ;   in Loop: Header=BB50_10 Depth=2
	v_mov_b32_e32 v12, v19
	s_mov_b32 s45, 0
                                        ; implicit-def: $sgpr44
                                        ; implicit-def: $sgpr47
                                        ; implicit-def: $sgpr46
	s_inst_prefetch 0x1
	s_branch .LBB50_51
	.p2align	6
.LBB50_50:                              ;   in Loop: Header=BB50_51 Depth=3
	s_or_b32 exec_lo, exec_lo, s48
	s_and_b32 s48, exec_lo, s47
	s_or_b32 s45, s48, s45
	s_andn2_b32 s44, s44, exec_lo
	s_and_b32 s48, s46, exec_lo
	s_or_b32 s44, s44, s48
	s_andn2_b32 exec_lo, exec_lo, s45
	s_cbranch_execz .LBB50_53
.LBB50_51:                              ;   Parent Loop BB50_6 Depth=1
                                        ;     Parent Loop BB50_10 Depth=2
                                        ; =>    This Inner Loop Header: Depth=3
	v_add_nc_u32_e32 v26, v18, v12
	s_or_b32 s46, s46, exec_lo
	s_or_b32 s47, s47, exec_lo
	s_mov_b32 s48, exec_lo
	v_ashrrev_i32_e32 v27, 31, v26
	v_lshlrev_b64 v[37:38], 2, v[26:27]
	v_add_co_u32 v37, vcc_lo, s12, v37
	v_add_co_ci_u32_e64 v38, null, s13, v38, vcc_lo
	global_load_dword v37, v[37:38], off
	s_waitcnt vmcnt(0)
	v_subrev_nc_u32_e32 v37, s38, v37
	v_cmpx_ne_u32_e64 v37, v5
	s_cbranch_execz .LBB50_50
; %bb.52:                               ;   in Loop: Header=BB50_51 Depth=3
	v_add_nc_u32_e32 v12, 1, v12
	s_andn2_b32 s47, s47, exec_lo
	s_andn2_b32 s46, s46, exec_lo
	v_cmp_ge_i32_e32 vcc_lo, v12, v36
	s_and_b32 s49, vcc_lo, exec_lo
	s_or_b32 s47, s47, s49
	s_branch .LBB50_50
.LBB50_53:                              ;   in Loop: Header=BB50_10 Depth=2
	s_inst_prefetch 0x2
	s_or_b32 exec_lo, exec_lo, s45
	s_and_saveexec_b32 s45, s44
	s_xor_b32 s44, exec_lo, s45
	s_cbranch_execz .LBB50_55
; %bb.54:                               ;   in Loop: Header=BB50_10 Depth=2
	v_lshlrev_b64 v[26:27], 4, v[26:27]
	v_add_co_u32 v26, vcc_lo, s14, v26
	v_add_co_ci_u32_e64 v27, null, s15, v27, vcc_lo
	global_load_dwordx4 v[37:40], v[26:27], off
	s_waitcnt vmcnt(0)
	v_add_f64 v[22:23], v[22:23], v[37:38]
	v_add_f64 v[24:25], v[24:25], v[39:40]
.LBB50_55:                              ;   in Loop: Header=BB50_10 Depth=2
	s_or_b32 exec_lo, exec_lo, s44
	s_or_b32 exec_lo, exec_lo, s43
	s_mov_b32 s43, exec_lo
	v_cmpx_eq_u32_e64 v5, v14
	s_cbranch_execnz .LBB50_23
	s_branch .LBB50_24
.LBB50_56:                              ;   in Loop: Header=BB50_10 Depth=2
	s_mov_b32 s45, exec_lo
                                        ; implicit-def: $vgpr3_vgpr4
	v_cmpx_ge_i32_e64 v5, v14
	s_xor_b32 s45, exec_lo, s45
	s_cbranch_execz .LBB50_58
; %bb.57:                               ;   in Loop: Header=BB50_10 Depth=2
	v_lshlrev_b64 v[3:4], 4, v[14:15]
	s_mov_b32 s44, exec_lo
                                        ; implicit-def: $vgpr19
                                        ; implicit-def: $vgpr18
                                        ; implicit-def: $vgpr36
	v_add_co_u32 v3, vcc_lo, s6, v3
	v_add_co_ci_u32_e64 v4, null, s7, v4, vcc_lo
	global_store_dwordx2 v[3:4], v[20:21], off
                                        ; implicit-def: $vgpr20_vgpr21
.LBB50_58:                              ;   in Loop: Header=BB50_10 Depth=2
	s_andn2_saveexec_b32 s45, s45
	s_cbranch_execz .LBB50_68
; %bb.59:                               ;   in Loop: Header=BB50_10 Depth=2
	s_mov_b32 s47, s44
                                        ; implicit-def: $vgpr3_vgpr4
	s_and_saveexec_b32 s46, s1
	s_cbranch_execz .LBB50_67
; %bb.60:                               ;   in Loop: Header=BB50_10 Depth=2
	s_mov_b32 s47, 0
                                        ; implicit-def: $sgpr1
                                        ; implicit-def: $sgpr49
                                        ; implicit-def: $sgpr48
	s_inst_prefetch 0x1
	s_branch .LBB50_62
	.p2align	6
.LBB50_61:                              ;   in Loop: Header=BB50_62 Depth=3
	s_or_b32 exec_lo, exec_lo, s50
	s_and_b32 s50, exec_lo, s49
	s_or_b32 s47, s50, s47
	s_andn2_b32 s1, s1, exec_lo
	s_and_b32 s50, s48, exec_lo
	s_or_b32 s1, s1, s50
	s_andn2_b32 exec_lo, exec_lo, s47
	s_cbranch_execz .LBB50_64
.LBB50_62:                              ;   Parent Loop BB50_6 Depth=1
                                        ;     Parent Loop BB50_10 Depth=2
                                        ; =>    This Inner Loop Header: Depth=3
	v_add_nc_u32_e32 v14, v18, v19
	s_or_b32 s48, s48, exec_lo
	s_or_b32 s49, s49, exec_lo
	s_mov_b32 s50, exec_lo
	v_ashrrev_i32_e32 v15, 31, v14
	v_lshlrev_b64 v[3:4], 2, v[14:15]
	v_add_co_u32 v3, vcc_lo, s12, v3
	v_add_co_ci_u32_e64 v4, null, s13, v4, vcc_lo
	global_load_dword v3, v[3:4], off
	s_waitcnt vmcnt(0)
	v_subrev_nc_u32_e32 v3, s38, v3
	v_cmpx_ne_u32_e64 v3, v5
	s_cbranch_execz .LBB50_61
; %bb.63:                               ;   in Loop: Header=BB50_62 Depth=3
	v_add_nc_u32_e32 v19, 1, v19
	s_andn2_b32 s49, s49, exec_lo
	s_andn2_b32 s48, s48, exec_lo
	v_cmp_ge_i32_e32 vcc_lo, v19, v36
	s_and_b32 s51, vcc_lo, exec_lo
	s_or_b32 s49, s49, s51
	s_branch .LBB50_61
.LBB50_64:                              ;   in Loop: Header=BB50_10 Depth=2
	s_inst_prefetch 0x2
	s_or_b32 exec_lo, exec_lo, s47
	s_mov_b32 s47, s44
                                        ; implicit-def: $vgpr3_vgpr4
	s_and_saveexec_b32 s48, s1
	s_xor_b32 s1, exec_lo, s48
	s_cbranch_execz .LBB50_66
; %bb.65:                               ;   in Loop: Header=BB50_10 Depth=2
	v_lshlrev_b64 v[3:4], 4, v[14:15]
	s_or_b32 s47, s44, exec_lo
	v_add_co_u32 v3, vcc_lo, s14, v3
	v_add_co_ci_u32_e64 v4, null, s15, v4, vcc_lo
	global_store_dwordx2 v[3:4], v[20:21], off
.LBB50_66:                              ;   in Loop: Header=BB50_10 Depth=2
	s_or_b32 exec_lo, exec_lo, s1
	s_andn2_b32 s1, s44, exec_lo
	s_and_b32 s47, s47, exec_lo
	s_or_b32 s47, s1, s47
.LBB50_67:                              ;   in Loop: Header=BB50_10 Depth=2
	s_or_b32 exec_lo, exec_lo, s46
	s_andn2_b32 s1, s44, exec_lo
	s_and_b32 s44, s47, exec_lo
	s_or_b32 s44, s1, s44
.LBB50_68:                              ;   in Loop: Header=BB50_10 Depth=2
	s_or_b32 exec_lo, exec_lo, s45
	s_and_b32 s44, s44, exec_lo
                                        ; implicit-def: $vgpr20_vgpr21
                                        ; implicit-def: $vgpr14_vgpr15
	s_andn2_saveexec_b32 s1, s2
	s_cbranch_execz .LBB50_44
.LBB50_69:                              ;   in Loop: Header=BB50_10 Depth=2
	s_mov_b32 s45, s44
	s_mov_b32 s2, exec_lo
                                        ; implicit-def: $vgpr3_vgpr4
	v_cmpx_lt_i32_e64 v9, v31
	s_cbranch_execz .LBB50_77
; %bb.70:                               ;   in Loop: Header=BB50_10 Depth=2
	s_mov_b32 s46, 0
                                        ; implicit-def: $sgpr45
                                        ; implicit-def: $sgpr48
                                        ; implicit-def: $sgpr47
	s_inst_prefetch 0x1
	s_branch .LBB50_72
	.p2align	6
.LBB50_71:                              ;   in Loop: Header=BB50_72 Depth=3
	s_or_b32 exec_lo, exec_lo, s49
	s_and_b32 s49, exec_lo, s48
	s_or_b32 s46, s49, s46
	s_andn2_b32 s45, s45, exec_lo
	s_and_b32 s49, s47, exec_lo
	s_or_b32 s45, s45, s49
	s_andn2_b32 exec_lo, exec_lo, s46
	s_cbranch_execz .LBB50_74
.LBB50_72:                              ;   Parent Loop BB50_6 Depth=1
                                        ;     Parent Loop BB50_10 Depth=2
                                        ; =>    This Inner Loop Header: Depth=3
	v_add_nc_u32_e32 v18, v13, v9
	s_or_b32 s47, s47, exec_lo
	s_or_b32 s48, s48, exec_lo
	s_mov_b32 s49, exec_lo
	v_ashrrev_i32_e32 v19, 31, v18
	v_lshlrev_b64 v[3:4], 2, v[18:19]
	v_add_co_u32 v3, vcc_lo, s20, v3
	v_add_co_ci_u32_e64 v4, null, s21, v4, vcc_lo
	global_load_dword v3, v[3:4], off
	s_waitcnt vmcnt(0)
	v_subrev_nc_u32_e32 v3, s37, v3
	v_cmpx_ne_u32_e64 v3, v14
	s_cbranch_execz .LBB50_71
; %bb.73:                               ;   in Loop: Header=BB50_72 Depth=3
	v_add_nc_u32_e32 v9, 1, v9
	s_andn2_b32 s48, s48, exec_lo
	s_andn2_b32 s47, s47, exec_lo
	v_cmp_ge_i32_e32 vcc_lo, v9, v31
	s_and_b32 s50, vcc_lo, exec_lo
	s_or_b32 s48, s48, s50
	s_branch .LBB50_71
.LBB50_74:                              ;   in Loop: Header=BB50_10 Depth=2
	s_inst_prefetch 0x2
	s_or_b32 exec_lo, exec_lo, s46
	s_mov_b32 s46, s44
                                        ; implicit-def: $vgpr3_vgpr4
	s_and_saveexec_b32 s47, s45
	s_xor_b32 s45, exec_lo, s47
	s_cbranch_execz .LBB50_76
; %bb.75:                               ;   in Loop: Header=BB50_10 Depth=2
	v_lshlrev_b64 v[3:4], 4, v[18:19]
	s_or_b32 s46, s44, exec_lo
	v_add_co_u32 v3, vcc_lo, s22, v3
	v_add_co_ci_u32_e64 v4, null, s23, v4, vcc_lo
	global_store_dwordx2 v[3:4], v[20:21], off
.LBB50_76:                              ;   in Loop: Header=BB50_10 Depth=2
	s_or_b32 exec_lo, exec_lo, s45
	s_andn2_b32 s45, s44, exec_lo
	s_and_b32 s46, s46, exec_lo
	s_or_b32 s45, s45, s46
.LBB50_77:                              ;   in Loop: Header=BB50_10 Depth=2
	s_or_b32 exec_lo, exec_lo, s2
	s_andn2_b32 s2, s44, exec_lo
	s_and_b32 s44, s45, exec_lo
	s_or_b32 s44, s2, s44
	s_or_b32 exec_lo, exec_lo, s1
	s_and_b32 exec_lo, exec_lo, s44
	s_cbranch_execz .LBB50_9
.LBB50_78:                              ;   in Loop: Header=BB50_10 Depth=2
	global_store_dwordx2 v[3:4], v[16:17], off offset:8
	s_branch .LBB50_9
.LBB50_79:
	s_or_b32 exec_lo, exec_lo, s39
.LBB50_80:
	s_or_b32 exec_lo, exec_lo, s34
.LBB50_81:
	s_or_b32 exec_lo, exec_lo, s3
	v_mbcnt_lo_u32_b32 v1, -1, 0
	s_mov_b32 s0, exec_lo
	v_xor_b32_e32 v2, 1, v1
	v_cmp_gt_i32_e32 vcc_lo, 32, v2
	v_cndmask_b32_e32 v1, v1, v2, vcc_lo
	v_lshlrev_b32_e32 v2, 2, v1
	ds_bpermute_b32 v1, v2, v7
	ds_bpermute_b32 v3, v2, v8
	v_cmpx_ne_u32_e32 0, v29
	s_cbranch_execz .LBB50_83
; %bb.82:
	s_waitcnt lgkmcnt(0)
	v_mov_b32_e32 v2, v3
	v_lshlrev_b32_e32 v4, 3, v28
	v_cmp_lt_f64_e32 vcc_lo, v[7:8], v[1:2]
	v_cndmask_b32_e32 v2, v8, v3, vcc_lo
	v_cndmask_b32_e32 v1, v7, v1, vcc_lo
	ds_write_b64 v4, v[1:2]
.LBB50_83:
	s_or_b32 exec_lo, exec_lo, s0
	s_waitcnt lgkmcnt(1)
	v_lshlrev_b32_e32 v1, 3, v0
	s_mov_b32 s0, exec_lo
	s_waitcnt lgkmcnt(0)
	s_waitcnt_vscnt null, 0x0
	s_barrier
	buffer_gl0_inv
	v_cmpx_gt_u32_e32 0x100, v0
	s_cbranch_execz .LBB50_85
; %bb.84:
	ds_read2st64_b64 v[2:5], v1 offset1:4
	s_waitcnt lgkmcnt(0)
	v_cmp_lt_f64_e32 vcc_lo, v[2:3], v[4:5]
	v_cndmask_b32_e32 v3, v3, v5, vcc_lo
	v_cndmask_b32_e32 v2, v2, v4, vcc_lo
	ds_write_b64 v1, v[2:3]
.LBB50_85:
	s_or_b32 exec_lo, exec_lo, s0
	s_mov_b32 s0, exec_lo
	s_waitcnt lgkmcnt(0)
	s_barrier
	buffer_gl0_inv
	v_cmpx_gt_u32_e32 0x80, v0
	s_cbranch_execz .LBB50_87
; %bb.86:
	ds_read2st64_b64 v[2:5], v1 offset1:2
	s_waitcnt lgkmcnt(0)
	v_cmp_lt_f64_e32 vcc_lo, v[2:3], v[4:5]
	v_cndmask_b32_e32 v3, v3, v5, vcc_lo
	v_cndmask_b32_e32 v2, v2, v4, vcc_lo
	ds_write_b64 v1, v[2:3]
.LBB50_87:
	s_or_b32 exec_lo, exec_lo, s0
	s_mov_b32 s0, exec_lo
	s_waitcnt lgkmcnt(0)
	;; [unrolled: 15-line block ×3, first 2 shown]
	s_barrier
	buffer_gl0_inv
	v_cmpx_gt_u32_e32 32, v0
	s_cbranch_execz .LBB50_91
; %bb.90:
	ds_read2_b64 v[2:5], v1 offset1:32
	s_waitcnt lgkmcnt(0)
	v_cmp_lt_f64_e32 vcc_lo, v[2:3], v[4:5]
	v_cndmask_b32_e32 v3, v3, v5, vcc_lo
	v_cndmask_b32_e32 v2, v2, v4, vcc_lo
	ds_write_b64 v1, v[2:3]
.LBB50_91:
	s_or_b32 exec_lo, exec_lo, s0
	s_mov_b32 s0, exec_lo
	s_waitcnt lgkmcnt(0)
	s_barrier
	buffer_gl0_inv
	v_cmpx_gt_u32_e32 16, v0
	s_cbranch_execz .LBB50_93
; %bb.92:
	ds_read2_b64 v[2:5], v1 offset1:16
	s_waitcnt lgkmcnt(0)
	v_cmp_lt_f64_e32 vcc_lo, v[2:3], v[4:5]
	v_cndmask_b32_e32 v3, v3, v5, vcc_lo
	v_cndmask_b32_e32 v2, v2, v4, vcc_lo
	ds_write_b64 v1, v[2:3]
.LBB50_93:
	s_or_b32 exec_lo, exec_lo, s0
	s_mov_b32 s0, exec_lo
	s_waitcnt lgkmcnt(0)
	;; [unrolled: 15-line block ×4, first 2 shown]
	s_barrier
	buffer_gl0_inv
	v_cmpx_gt_u32_e32 2, v0
	s_cbranch_execz .LBB50_99
; %bb.98:
	ds_read2_b64 v[2:5], v1 offset1:2
	s_waitcnt lgkmcnt(0)
	v_cmp_lt_f64_e32 vcc_lo, v[2:3], v[4:5]
	v_cndmask_b32_e32 v3, v3, v5, vcc_lo
	v_cndmask_b32_e32 v2, v2, v4, vcc_lo
	ds_write_b64 v1, v[2:3]
.LBB50_99:
	s_or_b32 exec_lo, exec_lo, s0
	v_cmp_eq_u32_e32 vcc_lo, 0, v0
	s_waitcnt lgkmcnt(0)
	s_barrier
	buffer_gl0_inv
	s_and_saveexec_b32 s1, vcc_lo
	s_cbranch_execz .LBB50_101
; %bb.100:
	v_mov_b32_e32 v4, 0
	ds_read_b128 v[0:3], v4
	s_waitcnt lgkmcnt(0)
	v_cmp_lt_f64_e64 s0, v[0:1], v[2:3]
	v_cndmask_b32_e64 v1, v1, v3, s0
	v_cndmask_b32_e64 v0, v0, v2, s0
	ds_write_b64 v4, v[0:1]
.LBB50_101:
	s_or_b32 exec_lo, exec_lo, s1
	s_waitcnt lgkmcnt(0)
	s_barrier
	buffer_gl0_inv
	s_and_saveexec_b32 s0, vcc_lo
	s_cbranch_execz .LBB50_105
; %bb.102:
	v_mbcnt_lo_u32_b32 v0, exec_lo, 0
	s_mov_b32 s6, 0
	v_cmp_eq_u32_e32 vcc_lo, 0, v0
	s_and_b32 exec_lo, exec_lo, vcc_lo
	s_cbranch_execz .LBB50_105
; %bb.103:
	s_load_dwordx4 s[0:3], s[4:5], 0x88
	v_mov_b32_e32 v6, 0
	s_waitcnt lgkmcnt(0)
	s_clause 0x1
	global_load_dwordx2 v[0:1], v6, s[2:3]
	global_load_dwordx2 v[2:3], v6, s[0:1]
	ds_read_b64 v[4:5], v6
	s_waitcnt vmcnt(1) lgkmcnt(0)
	v_div_scale_f64 v[7:8], null, v[0:1], v[0:1], v[4:5]
	v_rcp_f64_e32 v[9:10], v[7:8]
	v_fma_f64 v[11:12], -v[7:8], v[9:10], 1.0
	v_fma_f64 v[9:10], v[9:10], v[11:12], v[9:10]
	v_fma_f64 v[11:12], -v[7:8], v[9:10], 1.0
	v_fma_f64 v[9:10], v[9:10], v[11:12], v[9:10]
	v_div_scale_f64 v[11:12], vcc_lo, v[4:5], v[0:1], v[4:5]
	v_mul_f64 v[13:14], v[11:12], v[9:10]
	v_fma_f64 v[7:8], -v[7:8], v[13:14], v[11:12]
	v_div_fmas_f64 v[7:8], v[7:8], v[9:10], v[13:14]
	v_div_fixup_f64 v[0:1], v[7:8], v[0:1], v[4:5]
	v_max_f64 v[4:5], v[0:1], v[0:1]
.LBB50_104:                             ; =>This Inner Loop Header: Depth=1
	s_waitcnt vmcnt(0)
	v_max_f64 v[0:1], v[2:3], v[2:3]
	v_max_f64 v[0:1], v[0:1], v[4:5]
	global_atomic_cmpswap_x2 v[0:1], v6, v[0:3], s[0:1] glc
	s_waitcnt vmcnt(0)
	v_cmp_eq_u64_e32 vcc_lo, v[0:1], v[2:3]
	v_mov_b32_e32 v3, v1
	v_mov_b32_e32 v2, v0
	s_or_b32 s6, vcc_lo, s6
	s_andn2_b32 exec_lo, exec_lo, s6
	s_cbranch_execnz .LBB50_104
.LBB50_105:
	s_endpgm
	.section	.rodata,"a",@progbits
	.p2align	6, 0x0
	.amdhsa_kernel _ZN9rocsparseL17kernel_correctionILi1024ELi2E21rocsparse_complex_numIdEiiEEvT3_T2_PKS4_S6_PKS3_PKT1_21rocsparse_index_base_S6_S6_S8_PS9_SC_S6_S6_S8_SD_SC_SD_PNS_15floating_traitsIS9_E6data_tEPKSG_
		.amdhsa_group_segment_fixed_size 4096
		.amdhsa_private_segment_fixed_size 0
		.amdhsa_kernarg_size 152
		.amdhsa_user_sgpr_count 6
		.amdhsa_user_sgpr_private_segment_buffer 1
		.amdhsa_user_sgpr_dispatch_ptr 0
		.amdhsa_user_sgpr_queue_ptr 0
		.amdhsa_user_sgpr_kernarg_segment_ptr 1
		.amdhsa_user_sgpr_dispatch_id 0
		.amdhsa_user_sgpr_flat_scratch_init 0
		.amdhsa_user_sgpr_private_segment_size 0
		.amdhsa_wavefront_size32 1
		.amdhsa_uses_dynamic_stack 0
		.amdhsa_system_sgpr_private_segment_wavefront_offset 0
		.amdhsa_system_sgpr_workgroup_id_x 1
		.amdhsa_system_sgpr_workgroup_id_y 0
		.amdhsa_system_sgpr_workgroup_id_z 0
		.amdhsa_system_sgpr_workgroup_info 0
		.amdhsa_system_vgpr_workitem_id 0
		.amdhsa_next_free_vgpr 49
		.amdhsa_next_free_sgpr 52
		.amdhsa_reserve_vcc 1
		.amdhsa_reserve_flat_scratch 0
		.amdhsa_float_round_mode_32 0
		.amdhsa_float_round_mode_16_64 0
		.amdhsa_float_denorm_mode_32 3
		.amdhsa_float_denorm_mode_16_64 3
		.amdhsa_dx10_clamp 1
		.amdhsa_ieee_mode 1
		.amdhsa_fp16_overflow 0
		.amdhsa_workgroup_processor_mode 1
		.amdhsa_memory_ordered 1
		.amdhsa_forward_progress 1
		.amdhsa_shared_vgpr_count 0
		.amdhsa_exception_fp_ieee_invalid_op 0
		.amdhsa_exception_fp_denorm_src 0
		.amdhsa_exception_fp_ieee_div_zero 0
		.amdhsa_exception_fp_ieee_overflow 0
		.amdhsa_exception_fp_ieee_underflow 0
		.amdhsa_exception_fp_ieee_inexact 0
		.amdhsa_exception_int_div_zero 0
	.end_amdhsa_kernel
	.section	.text._ZN9rocsparseL17kernel_correctionILi1024ELi2E21rocsparse_complex_numIdEiiEEvT3_T2_PKS4_S6_PKS3_PKT1_21rocsparse_index_base_S6_S6_S8_PS9_SC_S6_S6_S8_SD_SC_SD_PNS_15floating_traitsIS9_E6data_tEPKSG_,"axG",@progbits,_ZN9rocsparseL17kernel_correctionILi1024ELi2E21rocsparse_complex_numIdEiiEEvT3_T2_PKS4_S6_PKS3_PKT1_21rocsparse_index_base_S6_S6_S8_PS9_SC_S6_S6_S8_SD_SC_SD_PNS_15floating_traitsIS9_E6data_tEPKSG_,comdat
.Lfunc_end50:
	.size	_ZN9rocsparseL17kernel_correctionILi1024ELi2E21rocsparse_complex_numIdEiiEEvT3_T2_PKS4_S6_PKS3_PKT1_21rocsparse_index_base_S6_S6_S8_PS9_SC_S6_S6_S8_SD_SC_SD_PNS_15floating_traitsIS9_E6data_tEPKSG_, .Lfunc_end50-_ZN9rocsparseL17kernel_correctionILi1024ELi2E21rocsparse_complex_numIdEiiEEvT3_T2_PKS4_S6_PKS3_PKT1_21rocsparse_index_base_S6_S6_S8_PS9_SC_S6_S6_S8_SD_SC_SD_PNS_15floating_traitsIS9_E6data_tEPKSG_
                                        ; -- End function
	.set _ZN9rocsparseL17kernel_correctionILi1024ELi2E21rocsparse_complex_numIdEiiEEvT3_T2_PKS4_S6_PKS3_PKT1_21rocsparse_index_base_S6_S6_S8_PS9_SC_S6_S6_S8_SD_SC_SD_PNS_15floating_traitsIS9_E6data_tEPKSG_.num_vgpr, 49
	.set _ZN9rocsparseL17kernel_correctionILi1024ELi2E21rocsparse_complex_numIdEiiEEvT3_T2_PKS4_S6_PKS3_PKT1_21rocsparse_index_base_S6_S6_S8_PS9_SC_S6_S6_S8_SD_SC_SD_PNS_15floating_traitsIS9_E6data_tEPKSG_.num_agpr, 0
	.set _ZN9rocsparseL17kernel_correctionILi1024ELi2E21rocsparse_complex_numIdEiiEEvT3_T2_PKS4_S6_PKS3_PKT1_21rocsparse_index_base_S6_S6_S8_PS9_SC_S6_S6_S8_SD_SC_SD_PNS_15floating_traitsIS9_E6data_tEPKSG_.numbered_sgpr, 52
	.set _ZN9rocsparseL17kernel_correctionILi1024ELi2E21rocsparse_complex_numIdEiiEEvT3_T2_PKS4_S6_PKS3_PKT1_21rocsparse_index_base_S6_S6_S8_PS9_SC_S6_S6_S8_SD_SC_SD_PNS_15floating_traitsIS9_E6data_tEPKSG_.num_named_barrier, 0
	.set _ZN9rocsparseL17kernel_correctionILi1024ELi2E21rocsparse_complex_numIdEiiEEvT3_T2_PKS4_S6_PKS3_PKT1_21rocsparse_index_base_S6_S6_S8_PS9_SC_S6_S6_S8_SD_SC_SD_PNS_15floating_traitsIS9_E6data_tEPKSG_.private_seg_size, 0
	.set _ZN9rocsparseL17kernel_correctionILi1024ELi2E21rocsparse_complex_numIdEiiEEvT3_T2_PKS4_S6_PKS3_PKT1_21rocsparse_index_base_S6_S6_S8_PS9_SC_S6_S6_S8_SD_SC_SD_PNS_15floating_traitsIS9_E6data_tEPKSG_.uses_vcc, 1
	.set _ZN9rocsparseL17kernel_correctionILi1024ELi2E21rocsparse_complex_numIdEiiEEvT3_T2_PKS4_S6_PKS3_PKT1_21rocsparse_index_base_S6_S6_S8_PS9_SC_S6_S6_S8_SD_SC_SD_PNS_15floating_traitsIS9_E6data_tEPKSG_.uses_flat_scratch, 0
	.set _ZN9rocsparseL17kernel_correctionILi1024ELi2E21rocsparse_complex_numIdEiiEEvT3_T2_PKS4_S6_PKS3_PKT1_21rocsparse_index_base_S6_S6_S8_PS9_SC_S6_S6_S8_SD_SC_SD_PNS_15floating_traitsIS9_E6data_tEPKSG_.has_dyn_sized_stack, 0
	.set _ZN9rocsparseL17kernel_correctionILi1024ELi2E21rocsparse_complex_numIdEiiEEvT3_T2_PKS4_S6_PKS3_PKT1_21rocsparse_index_base_S6_S6_S8_PS9_SC_S6_S6_S8_SD_SC_SD_PNS_15floating_traitsIS9_E6data_tEPKSG_.has_recursion, 0
	.set _ZN9rocsparseL17kernel_correctionILi1024ELi2E21rocsparse_complex_numIdEiiEEvT3_T2_PKS4_S6_PKS3_PKT1_21rocsparse_index_base_S6_S6_S8_PS9_SC_S6_S6_S8_SD_SC_SD_PNS_15floating_traitsIS9_E6data_tEPKSG_.has_indirect_call, 0
	.section	.AMDGPU.csdata,"",@progbits
; Kernel info:
; codeLenInByte = 4920
; TotalNumSgprs: 54
; NumVgprs: 49
; ScratchSize: 0
; MemoryBound: 1
; FloatMode: 240
; IeeeMode: 1
; LDSByteSize: 4096 bytes/workgroup (compile time only)
; SGPRBlocks: 0
; VGPRBlocks: 6
; NumSGPRsForWavesPerEU: 54
; NumVGPRsForWavesPerEU: 49
; Occupancy: 16
; WaveLimiterHint : 1
; COMPUTE_PGM_RSRC2:SCRATCH_EN: 0
; COMPUTE_PGM_RSRC2:USER_SGPR: 6
; COMPUTE_PGM_RSRC2:TRAP_HANDLER: 0
; COMPUTE_PGM_RSRC2:TGID_X_EN: 1
; COMPUTE_PGM_RSRC2:TGID_Y_EN: 0
; COMPUTE_PGM_RSRC2:TGID_Z_EN: 0
; COMPUTE_PGM_RSRC2:TIDIG_COMP_CNT: 0
	.section	.text._ZN9rocsparseL17kernel_correctionILi1024ELi4E21rocsparse_complex_numIdEiiEEvT3_T2_PKS4_S6_PKS3_PKT1_21rocsparse_index_base_S6_S6_S8_PS9_SC_S6_S6_S8_SD_SC_SD_PNS_15floating_traitsIS9_E6data_tEPKSG_,"axG",@progbits,_ZN9rocsparseL17kernel_correctionILi1024ELi4E21rocsparse_complex_numIdEiiEEvT3_T2_PKS4_S6_PKS3_PKT1_21rocsparse_index_base_S6_S6_S8_PS9_SC_S6_S6_S8_SD_SC_SD_PNS_15floating_traitsIS9_E6data_tEPKSG_,comdat
	.globl	_ZN9rocsparseL17kernel_correctionILi1024ELi4E21rocsparse_complex_numIdEiiEEvT3_T2_PKS4_S6_PKS3_PKT1_21rocsparse_index_base_S6_S6_S8_PS9_SC_S6_S6_S8_SD_SC_SD_PNS_15floating_traitsIS9_E6data_tEPKSG_ ; -- Begin function _ZN9rocsparseL17kernel_correctionILi1024ELi4E21rocsparse_complex_numIdEiiEEvT3_T2_PKS4_S6_PKS3_PKT1_21rocsparse_index_base_S6_S6_S8_PS9_SC_S6_S6_S8_SD_SC_SD_PNS_15floating_traitsIS9_E6data_tEPKSG_
	.p2align	8
	.type	_ZN9rocsparseL17kernel_correctionILi1024ELi4E21rocsparse_complex_numIdEiiEEvT3_T2_PKS4_S6_PKS3_PKT1_21rocsparse_index_base_S6_S6_S8_PS9_SC_S6_S6_S8_SD_SC_SD_PNS_15floating_traitsIS9_E6data_tEPKSG_,@function
_ZN9rocsparseL17kernel_correctionILi1024ELi4E21rocsparse_complex_numIdEiiEEvT3_T2_PKS4_S6_PKS3_PKT1_21rocsparse_index_base_S6_S6_S8_PS9_SC_S6_S6_S8_SD_SC_SD_PNS_15floating_traitsIS9_E6data_tEPKSG_: ; @_ZN9rocsparseL17kernel_correctionILi1024ELi4E21rocsparse_complex_numIdEiiEEvT3_T2_PKS4_S6_PKS3_PKT1_21rocsparse_index_base_S6_S6_S8_PS9_SC_S6_S6_S8_SD_SC_SD_PNS_15floating_traitsIS9_E6data_tEPKSG_
; %bb.0:
	s_load_dword s33, s[4:5], 0x0
	v_lshrrev_b32_e32 v28, 2, v0
	s_lshl_b32 s35, s6, 10
	v_mov_b32_e32 v7, 0
	v_and_b32_e32 v29, 3, v0
	v_mov_b32_e32 v8, 0
	v_or_b32_e32 v5, s35, v28
	s_mov_b32 s3, exec_lo
	s_waitcnt lgkmcnt(0)
	v_cmpx_gt_i32_e64 s33, v5
	s_cbranch_execz .LBB51_81
; %bb.1:
	v_mov_b32_e32 v7, 0
	v_mov_b32_e32 v8, 0
	s_addk_i32 s35, 0x400
	s_mov_b32 s34, exec_lo
	v_cmpx_gt_u32_e64 s35, v5
	s_cbranch_execz .LBB51_80
; %bb.2:
	s_clause 0x6
	s_load_dword s36, s[4:5], 0x28
	s_load_dwordx8 s[8:15], s[4:5], 0x58
	s_load_dwordx8 s[16:23], s[4:5], 0x30
	;; [unrolled: 1-line block ×3, first 2 shown]
	s_load_dword s37, s[4:5], 0x50
	s_load_dwordx2 s[6:7], s[4:5], 0x80
	s_load_dword s38, s[4:5], 0x78
	v_mov_b32_e32 v7, 0
	v_mov_b32_e32 v8, 0
	;; [unrolled: 1-line block ×3, first 2 shown]
	s_mov_b32 s39, 0
	s_waitcnt lgkmcnt(0)
	v_subrev_nc_u32_e32 v30, s36, v29
	s_branch .LBB51_6
.LBB51_3:                               ;   in Loop: Header=BB51_6 Depth=1
	s_or_b32 exec_lo, exec_lo, s42
.LBB51_4:                               ;   in Loop: Header=BB51_6 Depth=1
	s_or_b32 exec_lo, exec_lo, s41
.LBB51_5:                               ;   in Loop: Header=BB51_6 Depth=1
	s_or_b32 exec_lo, exec_lo, s40
	v_add_nc_u32_e32 v5, 0x100, v5
	v_cmp_le_u32_e32 vcc_lo, s35, v5
	s_or_b32 s39, vcc_lo, s39
	s_andn2_b32 exec_lo, exec_lo, s39
	s_cbranch_execz .LBB51_79
.LBB51_6:                               ; =>This Loop Header: Depth=1
                                        ;     Child Loop BB51_10 Depth 2
                                        ;       Child Loop BB51_14 Depth 3
                                        ;       Child Loop BB51_36 Depth 3
	;; [unrolled: 1-line block ×5, first 2 shown]
	s_mov_b32 s40, exec_lo
	v_cmpx_gt_i32_e64 s33, v5
	s_cbranch_execz .LBB51_5
; %bb.7:                                ;   in Loop: Header=BB51_6 Depth=1
	v_ashrrev_i32_e32 v6, 31, v5
	s_mov_b32 s41, exec_lo
	v_lshlrev_b64 v[1:2], 2, v[5:6]
	v_add_co_u32 v3, vcc_lo, s24, v1
	v_add_co_ci_u32_e64 v4, null, s25, v2, vcc_lo
	v_add_co_u32 v11, vcc_lo, s26, v1
	v_add_co_ci_u32_e64 v12, null, s27, v2, vcc_lo
	global_load_dword v3, v[3:4], off
	global_load_dword v4, v[11:12], off
	s_waitcnt vmcnt(1)
	v_add_nc_u32_e32 v11, v30, v3
	s_waitcnt vmcnt(0)
	v_subrev_nc_u32_e32 v6, s36, v4
	v_cmpx_lt_i32_e64 v11, v6
	s_cbranch_execz .LBB51_4
; %bb.8:                                ;   in Loop: Header=BB51_6 Depth=1
	v_add_co_u32 v3, vcc_lo, s16, v1
	v_add_co_ci_u32_e64 v4, null, s17, v2, vcc_lo
	v_add_co_u32 v1, vcc_lo, s18, v1
	v_add_co_ci_u32_e64 v2, null, s19, v2, vcc_lo
	global_load_dword v3, v[3:4], off
	s_mov_b32 s42, 0
	global_load_dword v4, v[1:2], off
	s_waitcnt vmcnt(1)
	v_subrev_nc_u32_e32 v13, s37, v3
	s_waitcnt vmcnt(0)
	v_sub_nc_u32_e32 v31, v4, v3
	v_ashrrev_i32_e32 v14, 31, v13
	v_cmp_lt_i32_e64 s0, 0, v31
	v_lshlrev_b64 v[1:2], 2, v[13:14]
	v_lshlrev_b64 v[3:4], 4, v[13:14]
	v_add_co_u32 v32, vcc_lo, s20, v1
	v_add_co_ci_u32_e64 v33, null, s21, v2, vcc_lo
	v_add_co_u32 v34, vcc_lo, s22, v3
	v_add_co_ci_u32_e64 v35, null, s23, v4, vcc_lo
	s_branch .LBB51_10
.LBB51_9:                               ;   in Loop: Header=BB51_10 Depth=2
	s_or_b32 exec_lo, exec_lo, s43
	v_cmp_nlg_f64_e64 s2, 0x7ff00000, |v[1:2]|
	v_cmp_gt_f64_e32 vcc_lo, v[7:8], v[1:2]
	v_add_nc_u32_e32 v11, 4, v11
	v_cmp_ge_i32_e64 s1, v11, v6
	s_or_b32 vcc_lo, s2, vcc_lo
	s_or_b32 s42, s1, s42
	v_cndmask_b32_e32 v8, v2, v8, vcc_lo
	v_cndmask_b32_e32 v7, v1, v7, vcc_lo
	s_andn2_b32 exec_lo, exec_lo, s42
	s_cbranch_execz .LBB51_3
.LBB51_10:                              ;   Parent Loop BB51_6 Depth=1
                                        ; =>  This Loop Header: Depth=2
                                        ;       Child Loop BB51_14 Depth 3
                                        ;       Child Loop BB51_36 Depth 3
	;; [unrolled: 1-line block ×5, first 2 shown]
	v_ashrrev_i32_e32 v12, 31, v11
	v_mov_b32_e32 v9, 0
	v_mov_b32_e32 v22, 0
	;; [unrolled: 1-line block ×4, first 2 shown]
	v_lshlrev_b64 v[1:2], 2, v[11:12]
	v_mov_b32_e32 v25, 0
	v_mov_b32_e32 v19, v9
	v_add_co_u32 v1, vcc_lo, s28, v1
	v_add_co_ci_u32_e64 v2, null, s29, v2, vcc_lo
	global_load_dword v1, v[1:2], off
	s_waitcnt vmcnt(0)
	v_subrev_nc_u32_e32 v14, s36, v1
	v_ashrrev_i32_e32 v15, 31, v14
	v_lshlrev_b64 v[1:2], 2, v[14:15]
	v_add_co_u32 v3, vcc_lo, s8, v1
	v_add_co_ci_u32_e64 v4, null, s9, v2, vcc_lo
	v_add_co_u32 v1, vcc_lo, s10, v1
	v_add_co_ci_u32_e64 v2, null, s11, v2, vcc_lo
	global_load_dword v3, v[3:4], off
	global_load_dword v1, v[1:2], off
	s_waitcnt vmcnt(1)
	v_subrev_nc_u32_e32 v18, s38, v3
	s_waitcnt vmcnt(0)
	v_sub_nc_u32_e32 v36, v1, v3
	s_and_saveexec_b32 s2, s0
	s_cbranch_execz .LBB51_18
; %bb.11:                               ;   in Loop: Header=BB51_10 Depth=2
	v_ashrrev_i32_e32 v19, 31, v18
	v_mov_b32_e32 v22, 0
	v_mov_b32_e32 v24, 0
	;; [unrolled: 1-line block ×4, first 2 shown]
	v_lshlrev_b64 v[1:2], 2, v[18:19]
	v_lshlrev_b64 v[3:4], 4, v[18:19]
	v_mov_b32_e32 v19, 0
	v_mov_b32_e32 v9, 0
	s_mov_b32 s43, 0
                                        ; implicit-def: $sgpr44
	v_add_co_u32 v1, vcc_lo, s12, v1
	v_add_co_ci_u32_e64 v2, null, s13, v2, vcc_lo
	v_add_co_u32 v3, vcc_lo, s14, v3
	v_add_co_ci_u32_e64 v4, null, s15, v4, vcc_lo
	s_branch .LBB51_14
.LBB51_12:                              ;   in Loop: Header=BB51_14 Depth=3
	s_or_b32 exec_lo, exec_lo, s1
	v_cmp_le_i32_e32 vcc_lo, v16, v17
	v_cmp_ge_i32_e64 s1, v16, v17
	v_add_co_ci_u32_e64 v9, null, 0, v9, vcc_lo
	v_add_co_ci_u32_e64 v19, null, 0, v19, s1
	s_andn2_b32 s1, s44, exec_lo
	v_cmp_ge_i32_e32 vcc_lo, v9, v31
	s_and_b32 s44, vcc_lo, exec_lo
	s_or_b32 s44, s1, s44
.LBB51_13:                              ;   in Loop: Header=BB51_14 Depth=3
	s_or_b32 exec_lo, exec_lo, s45
	s_and_b32 s1, exec_lo, s44
	s_or_b32 s43, s1, s43
	s_andn2_b32 exec_lo, exec_lo, s43
	s_cbranch_execz .LBB51_17
.LBB51_14:                              ;   Parent Loop BB51_6 Depth=1
                                        ;     Parent Loop BB51_10 Depth=2
                                        ; =>    This Inner Loop Header: Depth=3
	s_or_b32 s44, s44, exec_lo
	s_mov_b32 s45, exec_lo
	v_cmpx_lt_i32_e64 v19, v36
	s_cbranch_execz .LBB51_13
; %bb.15:                               ;   in Loop: Header=BB51_14 Depth=3
	v_mov_b32_e32 v20, v10
	v_lshlrev_b64 v[16:17], 2, v[9:10]
	s_mov_b32 s1, exec_lo
	v_lshlrev_b64 v[26:27], 2, v[19:20]
	v_add_co_u32 v16, vcc_lo, v32, v16
	v_add_co_ci_u32_e64 v17, null, v33, v17, vcc_lo
	v_add_co_u32 v26, vcc_lo, v1, v26
	v_add_co_ci_u32_e64 v27, null, v2, v27, vcc_lo
	global_load_dword v16, v[16:17], off
	global_load_dword v17, v[26:27], off
	s_waitcnt vmcnt(1)
	v_subrev_nc_u32_e32 v16, s37, v16
	s_waitcnt vmcnt(0)
	v_subrev_nc_u32_e32 v17, s38, v17
	v_cmpx_eq_u32_e64 v16, v17
	s_cbranch_execz .LBB51_12
; %bb.16:                               ;   in Loop: Header=BB51_14 Depth=3
	v_lshlrev_b64 v[26:27], 4, v[9:10]
	v_lshlrev_b64 v[20:21], 4, v[19:20]
	v_add_co_u32 v26, vcc_lo, v34, v26
	v_add_co_ci_u32_e64 v27, null, v35, v27, vcc_lo
	v_add_co_u32 v20, vcc_lo, v3, v20
	v_add_co_ci_u32_e64 v21, null, v4, v21, vcc_lo
	global_load_dwordx4 v[37:40], v[26:27], off
	global_load_dwordx4 v[41:44], v[20:21], off
	s_waitcnt vmcnt(0)
	v_fma_f64 v[20:21], v[37:38], v[41:42], v[22:23]
	v_fma_f64 v[24:25], v[39:40], v[41:42], v[24:25]
	v_fma_f64 v[22:23], -v[39:40], v[43:44], v[20:21]
	v_fma_f64 v[24:25], v[37:38], v[43:44], v[24:25]
	s_branch .LBB51_12
.LBB51_17:                              ;   in Loop: Header=BB51_10 Depth=2
	s_or_b32 exec_lo, exec_lo, s43
.LBB51_18:                              ;   in Loop: Header=BB51_10 Depth=2
	s_or_b32 exec_lo, exec_lo, s2
	v_lshlrev_b64 v[1:2], 4, v[11:12]
	v_cmp_le_i32_e64 s2, v5, v14
	s_mov_b32 s1, exec_lo
	v_add_co_u32 v1, vcc_lo, s30, v1
	v_add_co_ci_u32_e64 v2, null, s31, v2, vcc_lo
	global_load_dwordx4 v[1:4], v[1:2], off
	s_waitcnt vmcnt(0)
	v_add_f64 v[20:21], v[1:2], -v[22:23]
	v_add_f64 v[16:17], v[3:4], -v[24:25]
	v_cmpx_gt_i32_e64 v5, v14
	s_cbranch_execz .LBB51_20
; %bb.19:                               ;   in Loop: Header=BB51_10 Depth=2
	v_lshlrev_b64 v[26:27], 4, v[14:15]
	v_add_co_u32 v26, vcc_lo, s6, v26
	v_add_co_ci_u32_e64 v27, null, s7, v27, vcc_lo
	global_load_dwordx4 v[37:40], v[26:27], off
	s_waitcnt vmcnt(0)
	v_mul_f64 v[26:27], v[39:40], v[39:40]
	v_fma_f64 v[26:27], v[37:38], v[37:38], v[26:27]
	v_div_scale_f64 v[41:42], null, v[26:27], v[26:27], 1.0
	v_div_scale_f64 v[47:48], vcc_lo, 1.0, v[26:27], 1.0
	v_rcp_f64_e32 v[43:44], v[41:42]
	v_fma_f64 v[45:46], -v[41:42], v[43:44], 1.0
	v_fma_f64 v[43:44], v[43:44], v[45:46], v[43:44]
	v_fma_f64 v[45:46], -v[41:42], v[43:44], 1.0
	v_fma_f64 v[43:44], v[43:44], v[45:46], v[43:44]
	v_mul_f64 v[45:46], v[47:48], v[43:44]
	v_fma_f64 v[41:42], -v[41:42], v[45:46], v[47:48]
	v_div_fmas_f64 v[41:42], v[41:42], v[43:44], v[45:46]
	v_mul_f64 v[43:44], v[16:17], v[39:40]
	v_mul_f64 v[39:40], v[39:40], -v[20:21]
	v_div_fixup_f64 v[26:27], v[41:42], v[26:27], 1.0
	v_fma_f64 v[20:21], v[20:21], v[37:38], v[43:44]
	v_fma_f64 v[16:17], v[16:17], v[37:38], v[39:40]
	v_mul_f64 v[20:21], v[20:21], v[26:27]
	v_mul_f64 v[16:17], v[16:17], v[26:27]
.LBB51_20:                              ;   in Loop: Header=BB51_10 Depth=2
	s_or_b32 exec_lo, exec_lo, s1
	v_cmp_lt_i32_e64 s1, v19, v36
	s_mov_b32 s43, exec_lo
	v_cmpx_ge_i32_e64 v19, v36
	s_xor_b32 s43, exec_lo, s43
	s_cbranch_execnz .LBB51_33
; %bb.21:                               ;   in Loop: Header=BB51_10 Depth=2
	s_andn2_saveexec_b32 s43, s43
	s_cbranch_execnz .LBB51_49
.LBB51_22:                              ;   in Loop: Header=BB51_10 Depth=2
	s_or_b32 exec_lo, exec_lo, s43
	s_mov_b32 s43, exec_lo
	v_cmpx_eq_u32_e64 v5, v14
	s_cbranch_execz .LBB51_24
.LBB51_23:                              ;   in Loop: Header=BB51_10 Depth=2
	v_lshlrev_b64 v[26:27], 4, v[14:15]
	v_add_co_u32 v26, vcc_lo, s6, v26
	v_add_co_ci_u32_e64 v27, null, s7, v27, vcc_lo
	global_load_dwordx4 v[37:40], v[26:27], off
	s_waitcnt vmcnt(0)
	v_add_f64 v[22:23], v[22:23], v[37:38]
	v_add_f64 v[24:25], v[24:25], v[39:40]
.LBB51_24:                              ;   in Loop: Header=BB51_10 Depth=2
	s_or_b32 exec_lo, exec_lo, s43
	v_add_f64 v[22:23], v[1:2], -v[22:23]
	v_add_f64 v[24:25], v[3:4], -v[24:25]
	s_mov_b32 s43, exec_lo
	v_cmp_gt_f64_e32 vcc_lo, 0, v[22:23]
	v_xor_b32_e32 v1, 0x80000000, v23
	v_xor_b32_e32 v2, 0x80000000, v25
	v_mov_b32_e32 v3, v24
	v_cndmask_b32_e32 v23, v23, v1, vcc_lo
	v_cmp_gt_f64_e32 vcc_lo, 0, v[24:25]
	v_cndmask_b32_e32 v4, v25, v2, vcc_lo
                                        ; implicit-def: $vgpr1_vgpr2
	v_cmpx_ngt_f64_e32 v[22:23], v[3:4]
	s_xor_b32 s43, exec_lo, s43
	s_cbranch_execz .LBB51_28
; %bb.25:                               ;   in Loop: Header=BB51_10 Depth=2
	v_mov_b32_e32 v1, 0
	v_mov_b32_e32 v2, 0
	s_mov_b32 s44, exec_lo
	v_cmpx_neq_f64_e32 0, v[24:25]
	s_cbranch_execz .LBB51_27
; %bb.26:                               ;   in Loop: Header=BB51_10 Depth=2
	v_div_scale_f64 v[1:2], null, v[3:4], v[3:4], v[22:23]
	v_div_scale_f64 v[37:38], vcc_lo, v[22:23], v[3:4], v[22:23]
	v_rcp_f64_e32 v[24:25], v[1:2]
	v_fma_f64 v[26:27], -v[1:2], v[24:25], 1.0
	v_fma_f64 v[24:25], v[24:25], v[26:27], v[24:25]
	v_fma_f64 v[26:27], -v[1:2], v[24:25], 1.0
	v_fma_f64 v[24:25], v[24:25], v[26:27], v[24:25]
	v_mul_f64 v[26:27], v[37:38], v[24:25]
	v_fma_f64 v[1:2], -v[1:2], v[26:27], v[37:38]
	v_div_fmas_f64 v[1:2], v[1:2], v[24:25], v[26:27]
	v_div_fixup_f64 v[1:2], v[1:2], v[3:4], v[22:23]
	v_fma_f64 v[1:2], v[1:2], v[1:2], 1.0
	v_cmp_gt_f64_e32 vcc_lo, 0x10000000, v[1:2]
	v_cndmask_b32_e64 v12, 0, 0x100, vcc_lo
	v_ldexp_f64 v[1:2], v[1:2], v12
	v_cndmask_b32_e64 v12, 0, 0xffffff80, vcc_lo
	v_rsq_f64_e32 v[22:23], v[1:2]
	v_cmp_class_f64_e64 vcc_lo, v[1:2], 0x260
	v_mul_f64 v[24:25], v[1:2], v[22:23]
	v_mul_f64 v[22:23], v[22:23], 0.5
	v_fma_f64 v[26:27], -v[22:23], v[24:25], 0.5
	v_fma_f64 v[24:25], v[24:25], v[26:27], v[24:25]
	v_fma_f64 v[22:23], v[22:23], v[26:27], v[22:23]
	v_fma_f64 v[26:27], -v[24:25], v[24:25], v[1:2]
	v_fma_f64 v[24:25], v[26:27], v[22:23], v[24:25]
	v_fma_f64 v[26:27], -v[24:25], v[24:25], v[1:2]
	v_fma_f64 v[22:23], v[26:27], v[22:23], v[24:25]
	v_ldexp_f64 v[22:23], v[22:23], v12
	v_cndmask_b32_e32 v2, v23, v2, vcc_lo
	v_cndmask_b32_e32 v1, v22, v1, vcc_lo
	v_mul_f64 v[1:2], v[3:4], v[1:2]
.LBB51_27:                              ;   in Loop: Header=BB51_10 Depth=2
	s_or_b32 exec_lo, exec_lo, s44
                                        ; implicit-def: $vgpr22_vgpr23
                                        ; implicit-def: $vgpr3_vgpr4
.LBB51_28:                              ;   in Loop: Header=BB51_10 Depth=2
	s_andn2_saveexec_b32 s43, s43
	s_cbranch_execz .LBB51_30
; %bb.29:                               ;   in Loop: Header=BB51_10 Depth=2
	v_div_scale_f64 v[1:2], null, v[22:23], v[22:23], v[3:4]
	v_div_scale_f64 v[37:38], vcc_lo, v[3:4], v[22:23], v[3:4]
	v_rcp_f64_e32 v[24:25], v[1:2]
	v_fma_f64 v[26:27], -v[1:2], v[24:25], 1.0
	v_fma_f64 v[24:25], v[24:25], v[26:27], v[24:25]
	v_fma_f64 v[26:27], -v[1:2], v[24:25], 1.0
	v_fma_f64 v[24:25], v[24:25], v[26:27], v[24:25]
	v_mul_f64 v[26:27], v[37:38], v[24:25]
	v_fma_f64 v[1:2], -v[1:2], v[26:27], v[37:38]
	v_div_fmas_f64 v[1:2], v[1:2], v[24:25], v[26:27]
	v_div_fixup_f64 v[1:2], v[1:2], v[22:23], v[3:4]
	v_fma_f64 v[1:2], v[1:2], v[1:2], 1.0
	v_cmp_gt_f64_e32 vcc_lo, 0x10000000, v[1:2]
	v_cndmask_b32_e64 v3, 0, 0x100, vcc_lo
	v_cndmask_b32_e64 v12, 0, 0xffffff80, vcc_lo
	v_ldexp_f64 v[1:2], v[1:2], v3
	v_rsq_f64_e32 v[3:4], v[1:2]
	v_cmp_class_f64_e64 vcc_lo, v[1:2], 0x260
	v_mul_f64 v[24:25], v[1:2], v[3:4]
	v_mul_f64 v[3:4], v[3:4], 0.5
	v_fma_f64 v[26:27], -v[3:4], v[24:25], 0.5
	v_fma_f64 v[24:25], v[24:25], v[26:27], v[24:25]
	v_fma_f64 v[3:4], v[3:4], v[26:27], v[3:4]
	v_fma_f64 v[26:27], -v[24:25], v[24:25], v[1:2]
	v_fma_f64 v[24:25], v[26:27], v[3:4], v[24:25]
	v_fma_f64 v[26:27], -v[24:25], v[24:25], v[1:2]
	v_fma_f64 v[3:4], v[26:27], v[3:4], v[24:25]
	v_ldexp_f64 v[3:4], v[3:4], v12
	v_cndmask_b32_e32 v2, v4, v2, vcc_lo
	v_cndmask_b32_e32 v1, v3, v1, vcc_lo
	v_mul_f64 v[1:2], v[22:23], v[1:2]
.LBB51_30:                              ;   in Loop: Header=BB51_10 Depth=2
	s_or_b32 exec_lo, exec_lo, s43
	v_cmp_gt_f64_e32 vcc_lo, 0, v[20:21]
	v_xor_b32_e32 v4, 0x80000000, v21
	v_xor_b32_e32 v12, 0x80000000, v17
	v_mov_b32_e32 v3, v20
	v_mov_b32_e32 v22, v16
	s_mov_b32 s43, exec_lo
                                        ; implicit-def: $vgpr24_vgpr25
	v_cndmask_b32_e32 v4, v21, v4, vcc_lo
	v_cmp_gt_f64_e32 vcc_lo, 0, v[16:17]
	v_cndmask_b32_e32 v23, v17, v12, vcc_lo
	v_cmpx_ngt_f64_e32 v[3:4], v[22:23]
	s_xor_b32 s43, exec_lo, s43
	s_cbranch_execnz .LBB51_38
; %bb.31:                               ;   in Loop: Header=BB51_10 Depth=2
	s_andn2_saveexec_b32 s43, s43
	s_cbranch_execnz .LBB51_41
.LBB51_32:                              ;   in Loop: Header=BB51_10 Depth=2
	s_or_b32 exec_lo, exec_lo, s43
	v_cmp_class_f64_e64 s44, v[24:25], 0x1f8
	s_and_saveexec_b32 s43, s44
	s_cbranch_execz .LBB51_9
	s_branch .LBB51_42
.LBB51_33:                              ;   in Loop: Header=BB51_10 Depth=2
	s_mov_b32 s44, exec_lo
	v_cmpx_lt_i32_e64 v9, v31
	s_cbranch_execz .LBB51_48
; %bb.34:                               ;   in Loop: Header=BB51_10 Depth=2
	v_mov_b32_e32 v12, v9
	s_mov_b32 s46, 0
                                        ; implicit-def: $sgpr45
                                        ; implicit-def: $sgpr48
                                        ; implicit-def: $sgpr47
	s_inst_prefetch 0x1
	s_branch .LBB51_36
	.p2align	6
.LBB51_35:                              ;   in Loop: Header=BB51_36 Depth=3
	s_or_b32 exec_lo, exec_lo, s49
	s_and_b32 s49, exec_lo, s48
	s_or_b32 s46, s49, s46
	s_andn2_b32 s45, s45, exec_lo
	s_and_b32 s49, s47, exec_lo
	s_or_b32 s45, s45, s49
	s_andn2_b32 exec_lo, exec_lo, s46
	s_cbranch_execz .LBB51_45
.LBB51_36:                              ;   Parent Loop BB51_6 Depth=1
                                        ;     Parent Loop BB51_10 Depth=2
                                        ; =>    This Inner Loop Header: Depth=3
	v_add_nc_u32_e32 v26, v13, v12
	s_or_b32 s47, s47, exec_lo
	s_or_b32 s48, s48, exec_lo
	s_mov_b32 s49, exec_lo
	v_ashrrev_i32_e32 v27, 31, v26
	v_lshlrev_b64 v[37:38], 2, v[26:27]
	v_add_co_u32 v37, vcc_lo, s20, v37
	v_add_co_ci_u32_e64 v38, null, s21, v38, vcc_lo
	global_load_dword v37, v[37:38], off
	s_waitcnt vmcnt(0)
	v_subrev_nc_u32_e32 v37, s37, v37
	v_cmpx_ne_u32_e64 v37, v14
	s_cbranch_execz .LBB51_35
; %bb.37:                               ;   in Loop: Header=BB51_36 Depth=3
	v_add_nc_u32_e32 v12, 1, v12
	s_andn2_b32 s48, s48, exec_lo
	s_andn2_b32 s47, s47, exec_lo
	v_cmp_ge_i32_e32 vcc_lo, v12, v31
	s_and_b32 s50, vcc_lo, exec_lo
	s_or_b32 s48, s48, s50
	s_branch .LBB51_35
.LBB51_38:                              ;   in Loop: Header=BB51_10 Depth=2
	v_mov_b32_e32 v24, 0
	v_mov_b32_e32 v25, 0
	s_mov_b32 s44, exec_lo
	v_cmpx_neq_f64_e32 0, v[16:17]
	s_cbranch_execz .LBB51_40
; %bb.39:                               ;   in Loop: Header=BB51_10 Depth=2
	v_div_scale_f64 v[24:25], null, v[22:23], v[22:23], v[3:4]
	v_div_scale_f64 v[39:40], vcc_lo, v[3:4], v[22:23], v[3:4]
	v_rcp_f64_e32 v[26:27], v[24:25]
	v_fma_f64 v[37:38], -v[24:25], v[26:27], 1.0
	v_fma_f64 v[26:27], v[26:27], v[37:38], v[26:27]
	v_fma_f64 v[37:38], -v[24:25], v[26:27], 1.0
	v_fma_f64 v[26:27], v[26:27], v[37:38], v[26:27]
	v_mul_f64 v[37:38], v[39:40], v[26:27]
	v_fma_f64 v[24:25], -v[24:25], v[37:38], v[39:40]
	v_div_fmas_f64 v[24:25], v[24:25], v[26:27], v[37:38]
	v_div_fixup_f64 v[3:4], v[24:25], v[22:23], v[3:4]
	v_fma_f64 v[3:4], v[3:4], v[3:4], 1.0
	v_cmp_gt_f64_e32 vcc_lo, 0x10000000, v[3:4]
	v_cndmask_b32_e64 v12, 0, 0x100, vcc_lo
	v_ldexp_f64 v[3:4], v[3:4], v12
	v_cndmask_b32_e64 v12, 0, 0xffffff80, vcc_lo
	v_rsq_f64_e32 v[24:25], v[3:4]
	v_cmp_class_f64_e64 vcc_lo, v[3:4], 0x260
	v_mul_f64 v[26:27], v[3:4], v[24:25]
	v_mul_f64 v[24:25], v[24:25], 0.5
	v_fma_f64 v[37:38], -v[24:25], v[26:27], 0.5
	v_fma_f64 v[26:27], v[26:27], v[37:38], v[26:27]
	v_fma_f64 v[24:25], v[24:25], v[37:38], v[24:25]
	v_fma_f64 v[37:38], -v[26:27], v[26:27], v[3:4]
	v_fma_f64 v[26:27], v[37:38], v[24:25], v[26:27]
	v_fma_f64 v[37:38], -v[26:27], v[26:27], v[3:4]
	v_fma_f64 v[24:25], v[37:38], v[24:25], v[26:27]
	v_ldexp_f64 v[24:25], v[24:25], v12
	v_cndmask_b32_e32 v4, v25, v4, vcc_lo
	v_cndmask_b32_e32 v3, v24, v3, vcc_lo
	v_mul_f64 v[24:25], v[22:23], v[3:4]
.LBB51_40:                              ;   in Loop: Header=BB51_10 Depth=2
	s_or_b32 exec_lo, exec_lo, s44
                                        ; implicit-def: $vgpr3_vgpr4
                                        ; implicit-def: $vgpr22_vgpr23
	s_andn2_saveexec_b32 s43, s43
	s_cbranch_execz .LBB51_32
.LBB51_41:                              ;   in Loop: Header=BB51_10 Depth=2
	v_div_scale_f64 v[24:25], null, v[3:4], v[3:4], v[22:23]
	v_div_scale_f64 v[39:40], vcc_lo, v[22:23], v[3:4], v[22:23]
	v_rcp_f64_e32 v[26:27], v[24:25]
	v_fma_f64 v[37:38], -v[24:25], v[26:27], 1.0
	v_fma_f64 v[26:27], v[26:27], v[37:38], v[26:27]
	v_fma_f64 v[37:38], -v[24:25], v[26:27], 1.0
	v_fma_f64 v[26:27], v[26:27], v[37:38], v[26:27]
	v_mul_f64 v[37:38], v[39:40], v[26:27]
	v_fma_f64 v[24:25], -v[24:25], v[37:38], v[39:40]
	v_div_fmas_f64 v[24:25], v[24:25], v[26:27], v[37:38]
	v_div_fixup_f64 v[22:23], v[24:25], v[3:4], v[22:23]
	v_fma_f64 v[22:23], v[22:23], v[22:23], 1.0
	v_cmp_gt_f64_e32 vcc_lo, 0x10000000, v[22:23]
	v_cndmask_b32_e64 v12, 0, 0x100, vcc_lo
	v_ldexp_f64 v[22:23], v[22:23], v12
	v_cndmask_b32_e64 v12, 0, 0xffffff80, vcc_lo
	v_rsq_f64_e32 v[24:25], v[22:23]
	v_cmp_class_f64_e64 vcc_lo, v[22:23], 0x260
	v_mul_f64 v[26:27], v[22:23], v[24:25]
	v_mul_f64 v[24:25], v[24:25], 0.5
	v_fma_f64 v[37:38], -v[24:25], v[26:27], 0.5
	v_fma_f64 v[26:27], v[26:27], v[37:38], v[26:27]
	v_fma_f64 v[24:25], v[24:25], v[37:38], v[24:25]
	v_fma_f64 v[37:38], -v[26:27], v[26:27], v[22:23]
	v_fma_f64 v[26:27], v[37:38], v[24:25], v[26:27]
	v_fma_f64 v[37:38], -v[26:27], v[26:27], v[22:23]
	v_fma_f64 v[24:25], v[37:38], v[24:25], v[26:27]
	v_ldexp_f64 v[24:25], v[24:25], v12
	v_cndmask_b32_e32 v23, v25, v23, vcc_lo
	v_cndmask_b32_e32 v22, v24, v22, vcc_lo
	v_mul_f64 v[24:25], v[3:4], v[22:23]
	s_or_b32 exec_lo, exec_lo, s43
	v_cmp_class_f64_e64 s44, v[24:25], 0x1f8
	s_and_saveexec_b32 s43, s44
	s_cbranch_execz .LBB51_9
.LBB51_42:                              ;   in Loop: Header=BB51_10 Depth=2
	s_mov_b32 s44, 0
                                        ; implicit-def: $vgpr3_vgpr4
	s_and_saveexec_b32 s45, s2
	s_xor_b32 s2, exec_lo, s45
	s_cbranch_execnz .LBB51_56
; %bb.43:                               ;   in Loop: Header=BB51_10 Depth=2
	s_andn2_saveexec_b32 s1, s2
	s_cbranch_execnz .LBB51_69
.LBB51_44:                              ;   in Loop: Header=BB51_10 Depth=2
	s_or_b32 exec_lo, exec_lo, s1
	s_and_b32 exec_lo, exec_lo, s44
	s_cbranch_execz .LBB51_9
	s_branch .LBB51_78
.LBB51_45:                              ;   in Loop: Header=BB51_10 Depth=2
	s_inst_prefetch 0x2
	s_or_b32 exec_lo, exec_lo, s46
	s_and_saveexec_b32 s46, s45
	s_xor_b32 s45, exec_lo, s46
	s_cbranch_execz .LBB51_47
; %bb.46:                               ;   in Loop: Header=BB51_10 Depth=2
	v_lshlrev_b64 v[37:38], 4, v[14:15]
	v_lshlrev_b64 v[26:27], 4, v[26:27]
	v_add_co_u32 v37, vcc_lo, s6, v37
	v_add_co_ci_u32_e64 v38, null, s7, v38, vcc_lo
	v_add_co_u32 v26, vcc_lo, s22, v26
	v_add_co_ci_u32_e64 v27, null, s23, v27, vcc_lo
	global_load_dwordx4 v[37:40], v[37:38], off
	global_load_dwordx4 v[41:44], v[26:27], off
	s_waitcnt vmcnt(0)
	v_mul_f64 v[26:27], v[39:40], -v[43:44]
	v_mul_f64 v[39:40], v[39:40], v[41:42]
	v_fma_f64 v[26:27], v[41:42], v[37:38], v[26:27]
	v_fma_f64 v[37:38], v[43:44], v[37:38], v[39:40]
	v_add_f64 v[22:23], v[22:23], v[26:27]
	v_add_f64 v[24:25], v[24:25], v[37:38]
.LBB51_47:                              ;   in Loop: Header=BB51_10 Depth=2
	s_or_b32 exec_lo, exec_lo, s45
.LBB51_48:                              ;   in Loop: Header=BB51_10 Depth=2
	s_or_b32 exec_lo, exec_lo, s44
	s_andn2_saveexec_b32 s43, s43
	s_cbranch_execz .LBB51_22
.LBB51_49:                              ;   in Loop: Header=BB51_10 Depth=2
	v_mov_b32_e32 v12, v19
	s_mov_b32 s45, 0
                                        ; implicit-def: $sgpr44
                                        ; implicit-def: $sgpr47
                                        ; implicit-def: $sgpr46
	s_inst_prefetch 0x1
	s_branch .LBB51_51
	.p2align	6
.LBB51_50:                              ;   in Loop: Header=BB51_51 Depth=3
	s_or_b32 exec_lo, exec_lo, s48
	s_and_b32 s48, exec_lo, s47
	s_or_b32 s45, s48, s45
	s_andn2_b32 s44, s44, exec_lo
	s_and_b32 s48, s46, exec_lo
	s_or_b32 s44, s44, s48
	s_andn2_b32 exec_lo, exec_lo, s45
	s_cbranch_execz .LBB51_53
.LBB51_51:                              ;   Parent Loop BB51_6 Depth=1
                                        ;     Parent Loop BB51_10 Depth=2
                                        ; =>    This Inner Loop Header: Depth=3
	v_add_nc_u32_e32 v26, v18, v12
	s_or_b32 s46, s46, exec_lo
	s_or_b32 s47, s47, exec_lo
	s_mov_b32 s48, exec_lo
	v_ashrrev_i32_e32 v27, 31, v26
	v_lshlrev_b64 v[37:38], 2, v[26:27]
	v_add_co_u32 v37, vcc_lo, s12, v37
	v_add_co_ci_u32_e64 v38, null, s13, v38, vcc_lo
	global_load_dword v37, v[37:38], off
	s_waitcnt vmcnt(0)
	v_subrev_nc_u32_e32 v37, s38, v37
	v_cmpx_ne_u32_e64 v37, v5
	s_cbranch_execz .LBB51_50
; %bb.52:                               ;   in Loop: Header=BB51_51 Depth=3
	v_add_nc_u32_e32 v12, 1, v12
	s_andn2_b32 s47, s47, exec_lo
	s_andn2_b32 s46, s46, exec_lo
	v_cmp_ge_i32_e32 vcc_lo, v12, v36
	s_and_b32 s49, vcc_lo, exec_lo
	s_or_b32 s47, s47, s49
	s_branch .LBB51_50
.LBB51_53:                              ;   in Loop: Header=BB51_10 Depth=2
	s_inst_prefetch 0x2
	s_or_b32 exec_lo, exec_lo, s45
	s_and_saveexec_b32 s45, s44
	s_xor_b32 s44, exec_lo, s45
	s_cbranch_execz .LBB51_55
; %bb.54:                               ;   in Loop: Header=BB51_10 Depth=2
	v_lshlrev_b64 v[26:27], 4, v[26:27]
	v_add_co_u32 v26, vcc_lo, s14, v26
	v_add_co_ci_u32_e64 v27, null, s15, v27, vcc_lo
	global_load_dwordx4 v[37:40], v[26:27], off
	s_waitcnt vmcnt(0)
	v_add_f64 v[22:23], v[22:23], v[37:38]
	v_add_f64 v[24:25], v[24:25], v[39:40]
.LBB51_55:                              ;   in Loop: Header=BB51_10 Depth=2
	s_or_b32 exec_lo, exec_lo, s44
	s_or_b32 exec_lo, exec_lo, s43
	s_mov_b32 s43, exec_lo
	v_cmpx_eq_u32_e64 v5, v14
	s_cbranch_execnz .LBB51_23
	s_branch .LBB51_24
.LBB51_56:                              ;   in Loop: Header=BB51_10 Depth=2
	s_mov_b32 s45, exec_lo
                                        ; implicit-def: $vgpr3_vgpr4
	v_cmpx_ge_i32_e64 v5, v14
	s_xor_b32 s45, exec_lo, s45
	s_cbranch_execz .LBB51_58
; %bb.57:                               ;   in Loop: Header=BB51_10 Depth=2
	v_lshlrev_b64 v[3:4], 4, v[14:15]
	s_mov_b32 s44, exec_lo
                                        ; implicit-def: $vgpr19
                                        ; implicit-def: $vgpr18
                                        ; implicit-def: $vgpr36
	v_add_co_u32 v3, vcc_lo, s6, v3
	v_add_co_ci_u32_e64 v4, null, s7, v4, vcc_lo
	global_store_dwordx2 v[3:4], v[20:21], off
                                        ; implicit-def: $vgpr20_vgpr21
.LBB51_58:                              ;   in Loop: Header=BB51_10 Depth=2
	s_andn2_saveexec_b32 s45, s45
	s_cbranch_execz .LBB51_68
; %bb.59:                               ;   in Loop: Header=BB51_10 Depth=2
	s_mov_b32 s47, s44
                                        ; implicit-def: $vgpr3_vgpr4
	s_and_saveexec_b32 s46, s1
	s_cbranch_execz .LBB51_67
; %bb.60:                               ;   in Loop: Header=BB51_10 Depth=2
	s_mov_b32 s47, 0
                                        ; implicit-def: $sgpr1
                                        ; implicit-def: $sgpr49
                                        ; implicit-def: $sgpr48
	s_inst_prefetch 0x1
	s_branch .LBB51_62
	.p2align	6
.LBB51_61:                              ;   in Loop: Header=BB51_62 Depth=3
	s_or_b32 exec_lo, exec_lo, s50
	s_and_b32 s50, exec_lo, s49
	s_or_b32 s47, s50, s47
	s_andn2_b32 s1, s1, exec_lo
	s_and_b32 s50, s48, exec_lo
	s_or_b32 s1, s1, s50
	s_andn2_b32 exec_lo, exec_lo, s47
	s_cbranch_execz .LBB51_64
.LBB51_62:                              ;   Parent Loop BB51_6 Depth=1
                                        ;     Parent Loop BB51_10 Depth=2
                                        ; =>    This Inner Loop Header: Depth=3
	v_add_nc_u32_e32 v14, v18, v19
	s_or_b32 s48, s48, exec_lo
	s_or_b32 s49, s49, exec_lo
	s_mov_b32 s50, exec_lo
	v_ashrrev_i32_e32 v15, 31, v14
	v_lshlrev_b64 v[3:4], 2, v[14:15]
	v_add_co_u32 v3, vcc_lo, s12, v3
	v_add_co_ci_u32_e64 v4, null, s13, v4, vcc_lo
	global_load_dword v3, v[3:4], off
	s_waitcnt vmcnt(0)
	v_subrev_nc_u32_e32 v3, s38, v3
	v_cmpx_ne_u32_e64 v3, v5
	s_cbranch_execz .LBB51_61
; %bb.63:                               ;   in Loop: Header=BB51_62 Depth=3
	v_add_nc_u32_e32 v19, 1, v19
	s_andn2_b32 s49, s49, exec_lo
	s_andn2_b32 s48, s48, exec_lo
	v_cmp_ge_i32_e32 vcc_lo, v19, v36
	s_and_b32 s51, vcc_lo, exec_lo
	s_or_b32 s49, s49, s51
	s_branch .LBB51_61
.LBB51_64:                              ;   in Loop: Header=BB51_10 Depth=2
	s_inst_prefetch 0x2
	s_or_b32 exec_lo, exec_lo, s47
	s_mov_b32 s47, s44
                                        ; implicit-def: $vgpr3_vgpr4
	s_and_saveexec_b32 s48, s1
	s_xor_b32 s1, exec_lo, s48
	s_cbranch_execz .LBB51_66
; %bb.65:                               ;   in Loop: Header=BB51_10 Depth=2
	v_lshlrev_b64 v[3:4], 4, v[14:15]
	s_or_b32 s47, s44, exec_lo
	v_add_co_u32 v3, vcc_lo, s14, v3
	v_add_co_ci_u32_e64 v4, null, s15, v4, vcc_lo
	global_store_dwordx2 v[3:4], v[20:21], off
.LBB51_66:                              ;   in Loop: Header=BB51_10 Depth=2
	s_or_b32 exec_lo, exec_lo, s1
	s_andn2_b32 s1, s44, exec_lo
	s_and_b32 s47, s47, exec_lo
	s_or_b32 s47, s1, s47
.LBB51_67:                              ;   in Loop: Header=BB51_10 Depth=2
	s_or_b32 exec_lo, exec_lo, s46
	s_andn2_b32 s1, s44, exec_lo
	s_and_b32 s44, s47, exec_lo
	s_or_b32 s44, s1, s44
.LBB51_68:                              ;   in Loop: Header=BB51_10 Depth=2
	s_or_b32 exec_lo, exec_lo, s45
	s_and_b32 s44, s44, exec_lo
                                        ; implicit-def: $vgpr20_vgpr21
                                        ; implicit-def: $vgpr14_vgpr15
	s_andn2_saveexec_b32 s1, s2
	s_cbranch_execz .LBB51_44
.LBB51_69:                              ;   in Loop: Header=BB51_10 Depth=2
	s_mov_b32 s45, s44
	s_mov_b32 s2, exec_lo
                                        ; implicit-def: $vgpr3_vgpr4
	v_cmpx_lt_i32_e64 v9, v31
	s_cbranch_execz .LBB51_77
; %bb.70:                               ;   in Loop: Header=BB51_10 Depth=2
	s_mov_b32 s46, 0
                                        ; implicit-def: $sgpr45
                                        ; implicit-def: $sgpr48
                                        ; implicit-def: $sgpr47
	s_inst_prefetch 0x1
	s_branch .LBB51_72
	.p2align	6
.LBB51_71:                              ;   in Loop: Header=BB51_72 Depth=3
	s_or_b32 exec_lo, exec_lo, s49
	s_and_b32 s49, exec_lo, s48
	s_or_b32 s46, s49, s46
	s_andn2_b32 s45, s45, exec_lo
	s_and_b32 s49, s47, exec_lo
	s_or_b32 s45, s45, s49
	s_andn2_b32 exec_lo, exec_lo, s46
	s_cbranch_execz .LBB51_74
.LBB51_72:                              ;   Parent Loop BB51_6 Depth=1
                                        ;     Parent Loop BB51_10 Depth=2
                                        ; =>    This Inner Loop Header: Depth=3
	v_add_nc_u32_e32 v18, v13, v9
	s_or_b32 s47, s47, exec_lo
	s_or_b32 s48, s48, exec_lo
	s_mov_b32 s49, exec_lo
	v_ashrrev_i32_e32 v19, 31, v18
	v_lshlrev_b64 v[3:4], 2, v[18:19]
	v_add_co_u32 v3, vcc_lo, s20, v3
	v_add_co_ci_u32_e64 v4, null, s21, v4, vcc_lo
	global_load_dword v3, v[3:4], off
	s_waitcnt vmcnt(0)
	v_subrev_nc_u32_e32 v3, s37, v3
	v_cmpx_ne_u32_e64 v3, v14
	s_cbranch_execz .LBB51_71
; %bb.73:                               ;   in Loop: Header=BB51_72 Depth=3
	v_add_nc_u32_e32 v9, 1, v9
	s_andn2_b32 s48, s48, exec_lo
	s_andn2_b32 s47, s47, exec_lo
	v_cmp_ge_i32_e32 vcc_lo, v9, v31
	s_and_b32 s50, vcc_lo, exec_lo
	s_or_b32 s48, s48, s50
	s_branch .LBB51_71
.LBB51_74:                              ;   in Loop: Header=BB51_10 Depth=2
	s_inst_prefetch 0x2
	s_or_b32 exec_lo, exec_lo, s46
	s_mov_b32 s46, s44
                                        ; implicit-def: $vgpr3_vgpr4
	s_and_saveexec_b32 s47, s45
	s_xor_b32 s45, exec_lo, s47
	s_cbranch_execz .LBB51_76
; %bb.75:                               ;   in Loop: Header=BB51_10 Depth=2
	v_lshlrev_b64 v[3:4], 4, v[18:19]
	s_or_b32 s46, s44, exec_lo
	v_add_co_u32 v3, vcc_lo, s22, v3
	v_add_co_ci_u32_e64 v4, null, s23, v4, vcc_lo
	global_store_dwordx2 v[3:4], v[20:21], off
.LBB51_76:                              ;   in Loop: Header=BB51_10 Depth=2
	s_or_b32 exec_lo, exec_lo, s45
	s_andn2_b32 s45, s44, exec_lo
	s_and_b32 s46, s46, exec_lo
	s_or_b32 s45, s45, s46
.LBB51_77:                              ;   in Loop: Header=BB51_10 Depth=2
	s_or_b32 exec_lo, exec_lo, s2
	s_andn2_b32 s2, s44, exec_lo
	s_and_b32 s44, s45, exec_lo
	s_or_b32 s44, s2, s44
	s_or_b32 exec_lo, exec_lo, s1
	s_and_b32 exec_lo, exec_lo, s44
	s_cbranch_execz .LBB51_9
.LBB51_78:                              ;   in Loop: Header=BB51_10 Depth=2
	global_store_dwordx2 v[3:4], v[16:17], off offset:8
	s_branch .LBB51_9
.LBB51_79:
	s_or_b32 exec_lo, exec_lo, s39
.LBB51_80:
	s_or_b32 exec_lo, exec_lo, s34
.LBB51_81:
	s_or_b32 exec_lo, exec_lo, s3
	v_mbcnt_lo_u32_b32 v3, -1, 0
	v_xor_b32_e32 v1, 2, v3
	v_xor_b32_e32 v4, 1, v3
	v_cmp_gt_i32_e32 vcc_lo, 32, v1
	v_cmp_gt_i32_e64 s0, 32, v4
	v_cndmask_b32_e32 v1, v3, v1, vcc_lo
	v_cndmask_b32_e64 v3, v3, v4, s0
	s_mov_b32 s0, exec_lo
	v_lshlrev_b32_e32 v2, 2, v1
	v_lshlrev_b32_e32 v4, 2, v3
	ds_bpermute_b32 v1, v2, v7
	ds_bpermute_b32 v2, v2, v8
	s_waitcnt lgkmcnt(0)
	v_cmp_lt_f64_e32 vcc_lo, v[7:8], v[1:2]
	v_cndmask_b32_e32 v2, v8, v2, vcc_lo
	v_cndmask_b32_e32 v1, v7, v1, vcc_lo
	ds_bpermute_b32 v5, v4, v2
	ds_bpermute_b32 v3, v4, v1
	v_cmpx_eq_u32_e32 3, v29
	s_cbranch_execz .LBB51_83
; %bb.82:
	s_waitcnt lgkmcnt(1)
	v_mov_b32_e32 v4, v5
	s_waitcnt lgkmcnt(0)
	v_cmp_lt_f64_e32 vcc_lo, v[1:2], v[3:4]
	v_lshlrev_b32_e32 v4, 3, v28
	v_cndmask_b32_e32 v2, v2, v5, vcc_lo
	v_cndmask_b32_e32 v1, v1, v3, vcc_lo
	ds_write_b64 v4, v[1:2]
.LBB51_83:
	s_or_b32 exec_lo, exec_lo, s0
	v_lshlrev_b32_e32 v1, 3, v0
	s_mov_b32 s0, exec_lo
	s_waitcnt lgkmcnt(0)
	s_waitcnt_vscnt null, 0x0
	s_barrier
	buffer_gl0_inv
	v_cmpx_gt_u32_e32 0x80, v0
	s_cbranch_execz .LBB51_85
; %bb.84:
	ds_read2st64_b64 v[2:5], v1 offset1:2
	s_waitcnt lgkmcnt(0)
	v_cmp_lt_f64_e32 vcc_lo, v[2:3], v[4:5]
	v_cndmask_b32_e32 v3, v3, v5, vcc_lo
	v_cndmask_b32_e32 v2, v2, v4, vcc_lo
	ds_write_b64 v1, v[2:3]
.LBB51_85:
	s_or_b32 exec_lo, exec_lo, s0
	s_mov_b32 s0, exec_lo
	s_waitcnt lgkmcnt(0)
	s_barrier
	buffer_gl0_inv
	v_cmpx_gt_u32_e32 64, v0
	s_cbranch_execz .LBB51_87
; %bb.86:
	ds_read2st64_b64 v[2:5], v1 offset1:1
	s_waitcnt lgkmcnt(0)
	v_cmp_lt_f64_e32 vcc_lo, v[2:3], v[4:5]
	v_cndmask_b32_e32 v3, v3, v5, vcc_lo
	v_cndmask_b32_e32 v2, v2, v4, vcc_lo
	ds_write_b64 v1, v[2:3]
.LBB51_87:
	s_or_b32 exec_lo, exec_lo, s0
	s_mov_b32 s0, exec_lo
	s_waitcnt lgkmcnt(0)
	s_barrier
	buffer_gl0_inv
	v_cmpx_gt_u32_e32 32, v0
	s_cbranch_execz .LBB51_89
; %bb.88:
	ds_read2_b64 v[2:5], v1 offset1:32
	s_waitcnt lgkmcnt(0)
	v_cmp_lt_f64_e32 vcc_lo, v[2:3], v[4:5]
	v_cndmask_b32_e32 v3, v3, v5, vcc_lo
	v_cndmask_b32_e32 v2, v2, v4, vcc_lo
	ds_write_b64 v1, v[2:3]
.LBB51_89:
	s_or_b32 exec_lo, exec_lo, s0
	s_mov_b32 s0, exec_lo
	s_waitcnt lgkmcnt(0)
	s_barrier
	buffer_gl0_inv
	v_cmpx_gt_u32_e32 16, v0
	s_cbranch_execz .LBB51_91
; %bb.90:
	ds_read2_b64 v[2:5], v1 offset1:16
	s_waitcnt lgkmcnt(0)
	v_cmp_lt_f64_e32 vcc_lo, v[2:3], v[4:5]
	v_cndmask_b32_e32 v3, v3, v5, vcc_lo
	v_cndmask_b32_e32 v2, v2, v4, vcc_lo
	ds_write_b64 v1, v[2:3]
.LBB51_91:
	;; [unrolled: 15-line block ×5, first 2 shown]
	s_or_b32 exec_lo, exec_lo, s0
	v_cmp_eq_u32_e32 vcc_lo, 0, v0
	s_waitcnt lgkmcnt(0)
	s_barrier
	buffer_gl0_inv
	s_and_saveexec_b32 s1, vcc_lo
	s_cbranch_execz .LBB51_99
; %bb.98:
	v_mov_b32_e32 v4, 0
	ds_read_b128 v[0:3], v4
	s_waitcnt lgkmcnt(0)
	v_cmp_lt_f64_e64 s0, v[0:1], v[2:3]
	v_cndmask_b32_e64 v1, v1, v3, s0
	v_cndmask_b32_e64 v0, v0, v2, s0
	ds_write_b64 v4, v[0:1]
.LBB51_99:
	s_or_b32 exec_lo, exec_lo, s1
	s_waitcnt lgkmcnt(0)
	s_barrier
	buffer_gl0_inv
	s_and_saveexec_b32 s0, vcc_lo
	s_cbranch_execz .LBB51_103
; %bb.100:
	v_mbcnt_lo_u32_b32 v0, exec_lo, 0
	s_mov_b32 s6, 0
	v_cmp_eq_u32_e32 vcc_lo, 0, v0
	s_and_b32 exec_lo, exec_lo, vcc_lo
	s_cbranch_execz .LBB51_103
; %bb.101:
	s_load_dwordx4 s[0:3], s[4:5], 0x88
	v_mov_b32_e32 v6, 0
	s_waitcnt lgkmcnt(0)
	s_clause 0x1
	global_load_dwordx2 v[0:1], v6, s[2:3]
	global_load_dwordx2 v[2:3], v6, s[0:1]
	ds_read_b64 v[4:5], v6
	s_waitcnt vmcnt(1) lgkmcnt(0)
	v_div_scale_f64 v[7:8], null, v[0:1], v[0:1], v[4:5]
	v_rcp_f64_e32 v[9:10], v[7:8]
	v_fma_f64 v[11:12], -v[7:8], v[9:10], 1.0
	v_fma_f64 v[9:10], v[9:10], v[11:12], v[9:10]
	v_fma_f64 v[11:12], -v[7:8], v[9:10], 1.0
	v_fma_f64 v[9:10], v[9:10], v[11:12], v[9:10]
	v_div_scale_f64 v[11:12], vcc_lo, v[4:5], v[0:1], v[4:5]
	v_mul_f64 v[13:14], v[11:12], v[9:10]
	v_fma_f64 v[7:8], -v[7:8], v[13:14], v[11:12]
	v_div_fmas_f64 v[7:8], v[7:8], v[9:10], v[13:14]
	v_div_fixup_f64 v[0:1], v[7:8], v[0:1], v[4:5]
	v_max_f64 v[4:5], v[0:1], v[0:1]
.LBB51_102:                             ; =>This Inner Loop Header: Depth=1
	s_waitcnt vmcnt(0)
	v_max_f64 v[0:1], v[2:3], v[2:3]
	v_max_f64 v[0:1], v[0:1], v[4:5]
	global_atomic_cmpswap_x2 v[0:1], v6, v[0:3], s[0:1] glc
	s_waitcnt vmcnt(0)
	v_cmp_eq_u64_e32 vcc_lo, v[0:1], v[2:3]
	v_mov_b32_e32 v3, v1
	v_mov_b32_e32 v2, v0
	s_or_b32 s6, vcc_lo, s6
	s_andn2_b32 exec_lo, exec_lo, s6
	s_cbranch_execnz .LBB51_102
.LBB51_103:
	s_endpgm
	.section	.rodata,"a",@progbits
	.p2align	6, 0x0
	.amdhsa_kernel _ZN9rocsparseL17kernel_correctionILi1024ELi4E21rocsparse_complex_numIdEiiEEvT3_T2_PKS4_S6_PKS3_PKT1_21rocsparse_index_base_S6_S6_S8_PS9_SC_S6_S6_S8_SD_SC_SD_PNS_15floating_traitsIS9_E6data_tEPKSG_
		.amdhsa_group_segment_fixed_size 2048
		.amdhsa_private_segment_fixed_size 0
		.amdhsa_kernarg_size 152
		.amdhsa_user_sgpr_count 6
		.amdhsa_user_sgpr_private_segment_buffer 1
		.amdhsa_user_sgpr_dispatch_ptr 0
		.amdhsa_user_sgpr_queue_ptr 0
		.amdhsa_user_sgpr_kernarg_segment_ptr 1
		.amdhsa_user_sgpr_dispatch_id 0
		.amdhsa_user_sgpr_flat_scratch_init 0
		.amdhsa_user_sgpr_private_segment_size 0
		.amdhsa_wavefront_size32 1
		.amdhsa_uses_dynamic_stack 0
		.amdhsa_system_sgpr_private_segment_wavefront_offset 0
		.amdhsa_system_sgpr_workgroup_id_x 1
		.amdhsa_system_sgpr_workgroup_id_y 0
		.amdhsa_system_sgpr_workgroup_id_z 0
		.amdhsa_system_sgpr_workgroup_info 0
		.amdhsa_system_vgpr_workitem_id 0
		.amdhsa_next_free_vgpr 49
		.amdhsa_next_free_sgpr 52
		.amdhsa_reserve_vcc 1
		.amdhsa_reserve_flat_scratch 0
		.amdhsa_float_round_mode_32 0
		.amdhsa_float_round_mode_16_64 0
		.amdhsa_float_denorm_mode_32 3
		.amdhsa_float_denorm_mode_16_64 3
		.amdhsa_dx10_clamp 1
		.amdhsa_ieee_mode 1
		.amdhsa_fp16_overflow 0
		.amdhsa_workgroup_processor_mode 1
		.amdhsa_memory_ordered 1
		.amdhsa_forward_progress 1
		.amdhsa_shared_vgpr_count 0
		.amdhsa_exception_fp_ieee_invalid_op 0
		.amdhsa_exception_fp_denorm_src 0
		.amdhsa_exception_fp_ieee_div_zero 0
		.amdhsa_exception_fp_ieee_overflow 0
		.amdhsa_exception_fp_ieee_underflow 0
		.amdhsa_exception_fp_ieee_inexact 0
		.amdhsa_exception_int_div_zero 0
	.end_amdhsa_kernel
	.section	.text._ZN9rocsparseL17kernel_correctionILi1024ELi4E21rocsparse_complex_numIdEiiEEvT3_T2_PKS4_S6_PKS3_PKT1_21rocsparse_index_base_S6_S6_S8_PS9_SC_S6_S6_S8_SD_SC_SD_PNS_15floating_traitsIS9_E6data_tEPKSG_,"axG",@progbits,_ZN9rocsparseL17kernel_correctionILi1024ELi4E21rocsparse_complex_numIdEiiEEvT3_T2_PKS4_S6_PKS3_PKT1_21rocsparse_index_base_S6_S6_S8_PS9_SC_S6_S6_S8_SD_SC_SD_PNS_15floating_traitsIS9_E6data_tEPKSG_,comdat
.Lfunc_end51:
	.size	_ZN9rocsparseL17kernel_correctionILi1024ELi4E21rocsparse_complex_numIdEiiEEvT3_T2_PKS4_S6_PKS3_PKT1_21rocsparse_index_base_S6_S6_S8_PS9_SC_S6_S6_S8_SD_SC_SD_PNS_15floating_traitsIS9_E6data_tEPKSG_, .Lfunc_end51-_ZN9rocsparseL17kernel_correctionILi1024ELi4E21rocsparse_complex_numIdEiiEEvT3_T2_PKS4_S6_PKS3_PKT1_21rocsparse_index_base_S6_S6_S8_PS9_SC_S6_S6_S8_SD_SC_SD_PNS_15floating_traitsIS9_E6data_tEPKSG_
                                        ; -- End function
	.set _ZN9rocsparseL17kernel_correctionILi1024ELi4E21rocsparse_complex_numIdEiiEEvT3_T2_PKS4_S6_PKS3_PKT1_21rocsparse_index_base_S6_S6_S8_PS9_SC_S6_S6_S8_SD_SC_SD_PNS_15floating_traitsIS9_E6data_tEPKSG_.num_vgpr, 49
	.set _ZN9rocsparseL17kernel_correctionILi1024ELi4E21rocsparse_complex_numIdEiiEEvT3_T2_PKS4_S6_PKS3_PKT1_21rocsparse_index_base_S6_S6_S8_PS9_SC_S6_S6_S8_SD_SC_SD_PNS_15floating_traitsIS9_E6data_tEPKSG_.num_agpr, 0
	.set _ZN9rocsparseL17kernel_correctionILi1024ELi4E21rocsparse_complex_numIdEiiEEvT3_T2_PKS4_S6_PKS3_PKT1_21rocsparse_index_base_S6_S6_S8_PS9_SC_S6_S6_S8_SD_SC_SD_PNS_15floating_traitsIS9_E6data_tEPKSG_.numbered_sgpr, 52
	.set _ZN9rocsparseL17kernel_correctionILi1024ELi4E21rocsparse_complex_numIdEiiEEvT3_T2_PKS4_S6_PKS3_PKT1_21rocsparse_index_base_S6_S6_S8_PS9_SC_S6_S6_S8_SD_SC_SD_PNS_15floating_traitsIS9_E6data_tEPKSG_.num_named_barrier, 0
	.set _ZN9rocsparseL17kernel_correctionILi1024ELi4E21rocsparse_complex_numIdEiiEEvT3_T2_PKS4_S6_PKS3_PKT1_21rocsparse_index_base_S6_S6_S8_PS9_SC_S6_S6_S8_SD_SC_SD_PNS_15floating_traitsIS9_E6data_tEPKSG_.private_seg_size, 0
	.set _ZN9rocsparseL17kernel_correctionILi1024ELi4E21rocsparse_complex_numIdEiiEEvT3_T2_PKS4_S6_PKS3_PKT1_21rocsparse_index_base_S6_S6_S8_PS9_SC_S6_S6_S8_SD_SC_SD_PNS_15floating_traitsIS9_E6data_tEPKSG_.uses_vcc, 1
	.set _ZN9rocsparseL17kernel_correctionILi1024ELi4E21rocsparse_complex_numIdEiiEEvT3_T2_PKS4_S6_PKS3_PKT1_21rocsparse_index_base_S6_S6_S8_PS9_SC_S6_S6_S8_SD_SC_SD_PNS_15floating_traitsIS9_E6data_tEPKSG_.uses_flat_scratch, 0
	.set _ZN9rocsparseL17kernel_correctionILi1024ELi4E21rocsparse_complex_numIdEiiEEvT3_T2_PKS4_S6_PKS3_PKT1_21rocsparse_index_base_S6_S6_S8_PS9_SC_S6_S6_S8_SD_SC_SD_PNS_15floating_traitsIS9_E6data_tEPKSG_.has_dyn_sized_stack, 0
	.set _ZN9rocsparseL17kernel_correctionILi1024ELi4E21rocsparse_complex_numIdEiiEEvT3_T2_PKS4_S6_PKS3_PKT1_21rocsparse_index_base_S6_S6_S8_PS9_SC_S6_S6_S8_SD_SC_SD_PNS_15floating_traitsIS9_E6data_tEPKSG_.has_recursion, 0
	.set _ZN9rocsparseL17kernel_correctionILi1024ELi4E21rocsparse_complex_numIdEiiEEvT3_T2_PKS4_S6_PKS3_PKT1_21rocsparse_index_base_S6_S6_S8_PS9_SC_S6_S6_S8_SD_SC_SD_PNS_15floating_traitsIS9_E6data_tEPKSG_.has_indirect_call, 0
	.section	.AMDGPU.csdata,"",@progbits
; Kernel info:
; codeLenInByte = 4908
; TotalNumSgprs: 54
; NumVgprs: 49
; ScratchSize: 0
; MemoryBound: 1
; FloatMode: 240
; IeeeMode: 1
; LDSByteSize: 2048 bytes/workgroup (compile time only)
; SGPRBlocks: 0
; VGPRBlocks: 6
; NumSGPRsForWavesPerEU: 54
; NumVGPRsForWavesPerEU: 49
; Occupancy: 16
; WaveLimiterHint : 1
; COMPUTE_PGM_RSRC2:SCRATCH_EN: 0
; COMPUTE_PGM_RSRC2:USER_SGPR: 6
; COMPUTE_PGM_RSRC2:TRAP_HANDLER: 0
; COMPUTE_PGM_RSRC2:TGID_X_EN: 1
; COMPUTE_PGM_RSRC2:TGID_Y_EN: 0
; COMPUTE_PGM_RSRC2:TGID_Z_EN: 0
; COMPUTE_PGM_RSRC2:TIDIG_COMP_CNT: 0
	.section	.text._ZN9rocsparseL17kernel_correctionILi1024ELi8E21rocsparse_complex_numIdEiiEEvT3_T2_PKS4_S6_PKS3_PKT1_21rocsparse_index_base_S6_S6_S8_PS9_SC_S6_S6_S8_SD_SC_SD_PNS_15floating_traitsIS9_E6data_tEPKSG_,"axG",@progbits,_ZN9rocsparseL17kernel_correctionILi1024ELi8E21rocsparse_complex_numIdEiiEEvT3_T2_PKS4_S6_PKS3_PKT1_21rocsparse_index_base_S6_S6_S8_PS9_SC_S6_S6_S8_SD_SC_SD_PNS_15floating_traitsIS9_E6data_tEPKSG_,comdat
	.globl	_ZN9rocsparseL17kernel_correctionILi1024ELi8E21rocsparse_complex_numIdEiiEEvT3_T2_PKS4_S6_PKS3_PKT1_21rocsparse_index_base_S6_S6_S8_PS9_SC_S6_S6_S8_SD_SC_SD_PNS_15floating_traitsIS9_E6data_tEPKSG_ ; -- Begin function _ZN9rocsparseL17kernel_correctionILi1024ELi8E21rocsparse_complex_numIdEiiEEvT3_T2_PKS4_S6_PKS3_PKT1_21rocsparse_index_base_S6_S6_S8_PS9_SC_S6_S6_S8_SD_SC_SD_PNS_15floating_traitsIS9_E6data_tEPKSG_
	.p2align	8
	.type	_ZN9rocsparseL17kernel_correctionILi1024ELi8E21rocsparse_complex_numIdEiiEEvT3_T2_PKS4_S6_PKS3_PKT1_21rocsparse_index_base_S6_S6_S8_PS9_SC_S6_S6_S8_SD_SC_SD_PNS_15floating_traitsIS9_E6data_tEPKSG_,@function
_ZN9rocsparseL17kernel_correctionILi1024ELi8E21rocsparse_complex_numIdEiiEEvT3_T2_PKS4_S6_PKS3_PKT1_21rocsparse_index_base_S6_S6_S8_PS9_SC_S6_S6_S8_SD_SC_SD_PNS_15floating_traitsIS9_E6data_tEPKSG_: ; @_ZN9rocsparseL17kernel_correctionILi1024ELi8E21rocsparse_complex_numIdEiiEEvT3_T2_PKS4_S6_PKS3_PKT1_21rocsparse_index_base_S6_S6_S8_PS9_SC_S6_S6_S8_SD_SC_SD_PNS_15floating_traitsIS9_E6data_tEPKSG_
; %bb.0:
	s_load_dword s33, s[4:5], 0x0
	v_lshrrev_b32_e32 v28, 3, v0
	s_lshl_b32 s35, s6, 10
	v_mov_b32_e32 v7, 0
	v_and_b32_e32 v29, 7, v0
	v_mov_b32_e32 v8, 0
	v_or_b32_e32 v5, s35, v28
	s_mov_b32 s3, exec_lo
	s_waitcnt lgkmcnt(0)
	v_cmpx_gt_i32_e64 s33, v5
	s_cbranch_execz .LBB52_81
; %bb.1:
	v_mov_b32_e32 v7, 0
	v_mov_b32_e32 v8, 0
	s_addk_i32 s35, 0x400
	s_mov_b32 s34, exec_lo
	v_cmpx_gt_u32_e64 s35, v5
	s_cbranch_execz .LBB52_80
; %bb.2:
	s_clause 0x6
	s_load_dword s36, s[4:5], 0x28
	s_load_dwordx8 s[8:15], s[4:5], 0x58
	s_load_dwordx8 s[16:23], s[4:5], 0x30
	;; [unrolled: 1-line block ×3, first 2 shown]
	s_load_dword s37, s[4:5], 0x50
	s_load_dwordx2 s[6:7], s[4:5], 0x80
	s_load_dword s38, s[4:5], 0x78
	v_mov_b32_e32 v7, 0
	v_mov_b32_e32 v8, 0
	;; [unrolled: 1-line block ×3, first 2 shown]
	s_mov_b32 s39, 0
	s_waitcnt lgkmcnt(0)
	v_subrev_nc_u32_e32 v30, s36, v29
	s_branch .LBB52_6
.LBB52_3:                               ;   in Loop: Header=BB52_6 Depth=1
	s_or_b32 exec_lo, exec_lo, s42
.LBB52_4:                               ;   in Loop: Header=BB52_6 Depth=1
	s_or_b32 exec_lo, exec_lo, s41
.LBB52_5:                               ;   in Loop: Header=BB52_6 Depth=1
	s_or_b32 exec_lo, exec_lo, s40
	v_add_nc_u32_e32 v5, 0x80, v5
	v_cmp_le_u32_e32 vcc_lo, s35, v5
	s_or_b32 s39, vcc_lo, s39
	s_andn2_b32 exec_lo, exec_lo, s39
	s_cbranch_execz .LBB52_79
.LBB52_6:                               ; =>This Loop Header: Depth=1
                                        ;     Child Loop BB52_10 Depth 2
                                        ;       Child Loop BB52_14 Depth 3
                                        ;       Child Loop BB52_36 Depth 3
	;; [unrolled: 1-line block ×5, first 2 shown]
	s_mov_b32 s40, exec_lo
	v_cmpx_gt_i32_e64 s33, v5
	s_cbranch_execz .LBB52_5
; %bb.7:                                ;   in Loop: Header=BB52_6 Depth=1
	v_ashrrev_i32_e32 v6, 31, v5
	s_mov_b32 s41, exec_lo
	v_lshlrev_b64 v[1:2], 2, v[5:6]
	v_add_co_u32 v3, vcc_lo, s24, v1
	v_add_co_ci_u32_e64 v4, null, s25, v2, vcc_lo
	v_add_co_u32 v11, vcc_lo, s26, v1
	v_add_co_ci_u32_e64 v12, null, s27, v2, vcc_lo
	global_load_dword v3, v[3:4], off
	global_load_dword v4, v[11:12], off
	s_waitcnt vmcnt(1)
	v_add_nc_u32_e32 v11, v30, v3
	s_waitcnt vmcnt(0)
	v_subrev_nc_u32_e32 v6, s36, v4
	v_cmpx_lt_i32_e64 v11, v6
	s_cbranch_execz .LBB52_4
; %bb.8:                                ;   in Loop: Header=BB52_6 Depth=1
	v_add_co_u32 v3, vcc_lo, s16, v1
	v_add_co_ci_u32_e64 v4, null, s17, v2, vcc_lo
	v_add_co_u32 v1, vcc_lo, s18, v1
	v_add_co_ci_u32_e64 v2, null, s19, v2, vcc_lo
	global_load_dword v3, v[3:4], off
	s_mov_b32 s42, 0
	global_load_dword v4, v[1:2], off
	s_waitcnt vmcnt(1)
	v_subrev_nc_u32_e32 v13, s37, v3
	s_waitcnt vmcnt(0)
	v_sub_nc_u32_e32 v31, v4, v3
	v_ashrrev_i32_e32 v14, 31, v13
	v_cmp_lt_i32_e64 s0, 0, v31
	v_lshlrev_b64 v[1:2], 2, v[13:14]
	v_lshlrev_b64 v[3:4], 4, v[13:14]
	v_add_co_u32 v32, vcc_lo, s20, v1
	v_add_co_ci_u32_e64 v33, null, s21, v2, vcc_lo
	v_add_co_u32 v34, vcc_lo, s22, v3
	v_add_co_ci_u32_e64 v35, null, s23, v4, vcc_lo
	s_branch .LBB52_10
.LBB52_9:                               ;   in Loop: Header=BB52_10 Depth=2
	s_or_b32 exec_lo, exec_lo, s43
	v_cmp_nlg_f64_e64 s2, 0x7ff00000, |v[1:2]|
	v_cmp_gt_f64_e32 vcc_lo, v[7:8], v[1:2]
	v_add_nc_u32_e32 v11, 8, v11
	v_cmp_ge_i32_e64 s1, v11, v6
	s_or_b32 vcc_lo, s2, vcc_lo
	s_or_b32 s42, s1, s42
	v_cndmask_b32_e32 v8, v2, v8, vcc_lo
	v_cndmask_b32_e32 v7, v1, v7, vcc_lo
	s_andn2_b32 exec_lo, exec_lo, s42
	s_cbranch_execz .LBB52_3
.LBB52_10:                              ;   Parent Loop BB52_6 Depth=1
                                        ; =>  This Loop Header: Depth=2
                                        ;       Child Loop BB52_14 Depth 3
                                        ;       Child Loop BB52_36 Depth 3
                                        ;       Child Loop BB52_51 Depth 3
                                        ;       Child Loop BB52_62 Depth 3
                                        ;       Child Loop BB52_72 Depth 3
	v_ashrrev_i32_e32 v12, 31, v11
	v_mov_b32_e32 v9, 0
	v_mov_b32_e32 v22, 0
	;; [unrolled: 1-line block ×4, first 2 shown]
	v_lshlrev_b64 v[1:2], 2, v[11:12]
	v_mov_b32_e32 v25, 0
	v_mov_b32_e32 v19, v9
	v_add_co_u32 v1, vcc_lo, s28, v1
	v_add_co_ci_u32_e64 v2, null, s29, v2, vcc_lo
	global_load_dword v1, v[1:2], off
	s_waitcnt vmcnt(0)
	v_subrev_nc_u32_e32 v14, s36, v1
	v_ashrrev_i32_e32 v15, 31, v14
	v_lshlrev_b64 v[1:2], 2, v[14:15]
	v_add_co_u32 v3, vcc_lo, s8, v1
	v_add_co_ci_u32_e64 v4, null, s9, v2, vcc_lo
	v_add_co_u32 v1, vcc_lo, s10, v1
	v_add_co_ci_u32_e64 v2, null, s11, v2, vcc_lo
	global_load_dword v3, v[3:4], off
	global_load_dword v1, v[1:2], off
	s_waitcnt vmcnt(1)
	v_subrev_nc_u32_e32 v18, s38, v3
	s_waitcnt vmcnt(0)
	v_sub_nc_u32_e32 v36, v1, v3
	s_and_saveexec_b32 s2, s0
	s_cbranch_execz .LBB52_18
; %bb.11:                               ;   in Loop: Header=BB52_10 Depth=2
	v_ashrrev_i32_e32 v19, 31, v18
	v_mov_b32_e32 v22, 0
	v_mov_b32_e32 v24, 0
	;; [unrolled: 1-line block ×4, first 2 shown]
	v_lshlrev_b64 v[1:2], 2, v[18:19]
	v_lshlrev_b64 v[3:4], 4, v[18:19]
	v_mov_b32_e32 v19, 0
	v_mov_b32_e32 v9, 0
	s_mov_b32 s43, 0
                                        ; implicit-def: $sgpr44
	v_add_co_u32 v1, vcc_lo, s12, v1
	v_add_co_ci_u32_e64 v2, null, s13, v2, vcc_lo
	v_add_co_u32 v3, vcc_lo, s14, v3
	v_add_co_ci_u32_e64 v4, null, s15, v4, vcc_lo
	s_branch .LBB52_14
.LBB52_12:                              ;   in Loop: Header=BB52_14 Depth=3
	s_or_b32 exec_lo, exec_lo, s1
	v_cmp_le_i32_e32 vcc_lo, v16, v17
	v_cmp_ge_i32_e64 s1, v16, v17
	v_add_co_ci_u32_e64 v9, null, 0, v9, vcc_lo
	v_add_co_ci_u32_e64 v19, null, 0, v19, s1
	s_andn2_b32 s1, s44, exec_lo
	v_cmp_ge_i32_e32 vcc_lo, v9, v31
	s_and_b32 s44, vcc_lo, exec_lo
	s_or_b32 s44, s1, s44
.LBB52_13:                              ;   in Loop: Header=BB52_14 Depth=3
	s_or_b32 exec_lo, exec_lo, s45
	s_and_b32 s1, exec_lo, s44
	s_or_b32 s43, s1, s43
	s_andn2_b32 exec_lo, exec_lo, s43
	s_cbranch_execz .LBB52_17
.LBB52_14:                              ;   Parent Loop BB52_6 Depth=1
                                        ;     Parent Loop BB52_10 Depth=2
                                        ; =>    This Inner Loop Header: Depth=3
	s_or_b32 s44, s44, exec_lo
	s_mov_b32 s45, exec_lo
	v_cmpx_lt_i32_e64 v19, v36
	s_cbranch_execz .LBB52_13
; %bb.15:                               ;   in Loop: Header=BB52_14 Depth=3
	v_mov_b32_e32 v20, v10
	v_lshlrev_b64 v[16:17], 2, v[9:10]
	s_mov_b32 s1, exec_lo
	v_lshlrev_b64 v[26:27], 2, v[19:20]
	v_add_co_u32 v16, vcc_lo, v32, v16
	v_add_co_ci_u32_e64 v17, null, v33, v17, vcc_lo
	v_add_co_u32 v26, vcc_lo, v1, v26
	v_add_co_ci_u32_e64 v27, null, v2, v27, vcc_lo
	global_load_dword v16, v[16:17], off
	global_load_dword v17, v[26:27], off
	s_waitcnt vmcnt(1)
	v_subrev_nc_u32_e32 v16, s37, v16
	s_waitcnt vmcnt(0)
	v_subrev_nc_u32_e32 v17, s38, v17
	v_cmpx_eq_u32_e64 v16, v17
	s_cbranch_execz .LBB52_12
; %bb.16:                               ;   in Loop: Header=BB52_14 Depth=3
	v_lshlrev_b64 v[26:27], 4, v[9:10]
	v_lshlrev_b64 v[20:21], 4, v[19:20]
	v_add_co_u32 v26, vcc_lo, v34, v26
	v_add_co_ci_u32_e64 v27, null, v35, v27, vcc_lo
	v_add_co_u32 v20, vcc_lo, v3, v20
	v_add_co_ci_u32_e64 v21, null, v4, v21, vcc_lo
	global_load_dwordx4 v[37:40], v[26:27], off
	global_load_dwordx4 v[41:44], v[20:21], off
	s_waitcnt vmcnt(0)
	v_fma_f64 v[20:21], v[37:38], v[41:42], v[22:23]
	v_fma_f64 v[24:25], v[39:40], v[41:42], v[24:25]
	v_fma_f64 v[22:23], -v[39:40], v[43:44], v[20:21]
	v_fma_f64 v[24:25], v[37:38], v[43:44], v[24:25]
	s_branch .LBB52_12
.LBB52_17:                              ;   in Loop: Header=BB52_10 Depth=2
	s_or_b32 exec_lo, exec_lo, s43
.LBB52_18:                              ;   in Loop: Header=BB52_10 Depth=2
	s_or_b32 exec_lo, exec_lo, s2
	v_lshlrev_b64 v[1:2], 4, v[11:12]
	v_cmp_le_i32_e64 s2, v5, v14
	s_mov_b32 s1, exec_lo
	v_add_co_u32 v1, vcc_lo, s30, v1
	v_add_co_ci_u32_e64 v2, null, s31, v2, vcc_lo
	global_load_dwordx4 v[1:4], v[1:2], off
	s_waitcnt vmcnt(0)
	v_add_f64 v[20:21], v[1:2], -v[22:23]
	v_add_f64 v[16:17], v[3:4], -v[24:25]
	v_cmpx_gt_i32_e64 v5, v14
	s_cbranch_execz .LBB52_20
; %bb.19:                               ;   in Loop: Header=BB52_10 Depth=2
	v_lshlrev_b64 v[26:27], 4, v[14:15]
	v_add_co_u32 v26, vcc_lo, s6, v26
	v_add_co_ci_u32_e64 v27, null, s7, v27, vcc_lo
	global_load_dwordx4 v[37:40], v[26:27], off
	s_waitcnt vmcnt(0)
	v_mul_f64 v[26:27], v[39:40], v[39:40]
	v_fma_f64 v[26:27], v[37:38], v[37:38], v[26:27]
	v_div_scale_f64 v[41:42], null, v[26:27], v[26:27], 1.0
	v_div_scale_f64 v[47:48], vcc_lo, 1.0, v[26:27], 1.0
	v_rcp_f64_e32 v[43:44], v[41:42]
	v_fma_f64 v[45:46], -v[41:42], v[43:44], 1.0
	v_fma_f64 v[43:44], v[43:44], v[45:46], v[43:44]
	v_fma_f64 v[45:46], -v[41:42], v[43:44], 1.0
	v_fma_f64 v[43:44], v[43:44], v[45:46], v[43:44]
	v_mul_f64 v[45:46], v[47:48], v[43:44]
	v_fma_f64 v[41:42], -v[41:42], v[45:46], v[47:48]
	v_div_fmas_f64 v[41:42], v[41:42], v[43:44], v[45:46]
	v_mul_f64 v[43:44], v[16:17], v[39:40]
	v_mul_f64 v[39:40], v[39:40], -v[20:21]
	v_div_fixup_f64 v[26:27], v[41:42], v[26:27], 1.0
	v_fma_f64 v[20:21], v[20:21], v[37:38], v[43:44]
	v_fma_f64 v[16:17], v[16:17], v[37:38], v[39:40]
	v_mul_f64 v[20:21], v[20:21], v[26:27]
	v_mul_f64 v[16:17], v[16:17], v[26:27]
.LBB52_20:                              ;   in Loop: Header=BB52_10 Depth=2
	s_or_b32 exec_lo, exec_lo, s1
	v_cmp_lt_i32_e64 s1, v19, v36
	s_mov_b32 s43, exec_lo
	v_cmpx_ge_i32_e64 v19, v36
	s_xor_b32 s43, exec_lo, s43
	s_cbranch_execnz .LBB52_33
; %bb.21:                               ;   in Loop: Header=BB52_10 Depth=2
	s_andn2_saveexec_b32 s43, s43
	s_cbranch_execnz .LBB52_49
.LBB52_22:                              ;   in Loop: Header=BB52_10 Depth=2
	s_or_b32 exec_lo, exec_lo, s43
	s_mov_b32 s43, exec_lo
	v_cmpx_eq_u32_e64 v5, v14
	s_cbranch_execz .LBB52_24
.LBB52_23:                              ;   in Loop: Header=BB52_10 Depth=2
	v_lshlrev_b64 v[26:27], 4, v[14:15]
	v_add_co_u32 v26, vcc_lo, s6, v26
	v_add_co_ci_u32_e64 v27, null, s7, v27, vcc_lo
	global_load_dwordx4 v[37:40], v[26:27], off
	s_waitcnt vmcnt(0)
	v_add_f64 v[22:23], v[22:23], v[37:38]
	v_add_f64 v[24:25], v[24:25], v[39:40]
.LBB52_24:                              ;   in Loop: Header=BB52_10 Depth=2
	s_or_b32 exec_lo, exec_lo, s43
	v_add_f64 v[22:23], v[1:2], -v[22:23]
	v_add_f64 v[24:25], v[3:4], -v[24:25]
	s_mov_b32 s43, exec_lo
	v_cmp_gt_f64_e32 vcc_lo, 0, v[22:23]
	v_xor_b32_e32 v1, 0x80000000, v23
	v_xor_b32_e32 v2, 0x80000000, v25
	v_mov_b32_e32 v3, v24
	v_cndmask_b32_e32 v23, v23, v1, vcc_lo
	v_cmp_gt_f64_e32 vcc_lo, 0, v[24:25]
	v_cndmask_b32_e32 v4, v25, v2, vcc_lo
                                        ; implicit-def: $vgpr1_vgpr2
	v_cmpx_ngt_f64_e32 v[22:23], v[3:4]
	s_xor_b32 s43, exec_lo, s43
	s_cbranch_execz .LBB52_28
; %bb.25:                               ;   in Loop: Header=BB52_10 Depth=2
	v_mov_b32_e32 v1, 0
	v_mov_b32_e32 v2, 0
	s_mov_b32 s44, exec_lo
	v_cmpx_neq_f64_e32 0, v[24:25]
	s_cbranch_execz .LBB52_27
; %bb.26:                               ;   in Loop: Header=BB52_10 Depth=2
	v_div_scale_f64 v[1:2], null, v[3:4], v[3:4], v[22:23]
	v_div_scale_f64 v[37:38], vcc_lo, v[22:23], v[3:4], v[22:23]
	v_rcp_f64_e32 v[24:25], v[1:2]
	v_fma_f64 v[26:27], -v[1:2], v[24:25], 1.0
	v_fma_f64 v[24:25], v[24:25], v[26:27], v[24:25]
	v_fma_f64 v[26:27], -v[1:2], v[24:25], 1.0
	v_fma_f64 v[24:25], v[24:25], v[26:27], v[24:25]
	v_mul_f64 v[26:27], v[37:38], v[24:25]
	v_fma_f64 v[1:2], -v[1:2], v[26:27], v[37:38]
	v_div_fmas_f64 v[1:2], v[1:2], v[24:25], v[26:27]
	v_div_fixup_f64 v[1:2], v[1:2], v[3:4], v[22:23]
	v_fma_f64 v[1:2], v[1:2], v[1:2], 1.0
	v_cmp_gt_f64_e32 vcc_lo, 0x10000000, v[1:2]
	v_cndmask_b32_e64 v12, 0, 0x100, vcc_lo
	v_ldexp_f64 v[1:2], v[1:2], v12
	v_cndmask_b32_e64 v12, 0, 0xffffff80, vcc_lo
	v_rsq_f64_e32 v[22:23], v[1:2]
	v_cmp_class_f64_e64 vcc_lo, v[1:2], 0x260
	v_mul_f64 v[24:25], v[1:2], v[22:23]
	v_mul_f64 v[22:23], v[22:23], 0.5
	v_fma_f64 v[26:27], -v[22:23], v[24:25], 0.5
	v_fma_f64 v[24:25], v[24:25], v[26:27], v[24:25]
	v_fma_f64 v[22:23], v[22:23], v[26:27], v[22:23]
	v_fma_f64 v[26:27], -v[24:25], v[24:25], v[1:2]
	v_fma_f64 v[24:25], v[26:27], v[22:23], v[24:25]
	v_fma_f64 v[26:27], -v[24:25], v[24:25], v[1:2]
	v_fma_f64 v[22:23], v[26:27], v[22:23], v[24:25]
	v_ldexp_f64 v[22:23], v[22:23], v12
	v_cndmask_b32_e32 v2, v23, v2, vcc_lo
	v_cndmask_b32_e32 v1, v22, v1, vcc_lo
	v_mul_f64 v[1:2], v[3:4], v[1:2]
.LBB52_27:                              ;   in Loop: Header=BB52_10 Depth=2
	s_or_b32 exec_lo, exec_lo, s44
                                        ; implicit-def: $vgpr22_vgpr23
                                        ; implicit-def: $vgpr3_vgpr4
.LBB52_28:                              ;   in Loop: Header=BB52_10 Depth=2
	s_andn2_saveexec_b32 s43, s43
	s_cbranch_execz .LBB52_30
; %bb.29:                               ;   in Loop: Header=BB52_10 Depth=2
	v_div_scale_f64 v[1:2], null, v[22:23], v[22:23], v[3:4]
	v_div_scale_f64 v[37:38], vcc_lo, v[3:4], v[22:23], v[3:4]
	v_rcp_f64_e32 v[24:25], v[1:2]
	v_fma_f64 v[26:27], -v[1:2], v[24:25], 1.0
	v_fma_f64 v[24:25], v[24:25], v[26:27], v[24:25]
	v_fma_f64 v[26:27], -v[1:2], v[24:25], 1.0
	v_fma_f64 v[24:25], v[24:25], v[26:27], v[24:25]
	v_mul_f64 v[26:27], v[37:38], v[24:25]
	v_fma_f64 v[1:2], -v[1:2], v[26:27], v[37:38]
	v_div_fmas_f64 v[1:2], v[1:2], v[24:25], v[26:27]
	v_div_fixup_f64 v[1:2], v[1:2], v[22:23], v[3:4]
	v_fma_f64 v[1:2], v[1:2], v[1:2], 1.0
	v_cmp_gt_f64_e32 vcc_lo, 0x10000000, v[1:2]
	v_cndmask_b32_e64 v3, 0, 0x100, vcc_lo
	v_cndmask_b32_e64 v12, 0, 0xffffff80, vcc_lo
	v_ldexp_f64 v[1:2], v[1:2], v3
	v_rsq_f64_e32 v[3:4], v[1:2]
	v_cmp_class_f64_e64 vcc_lo, v[1:2], 0x260
	v_mul_f64 v[24:25], v[1:2], v[3:4]
	v_mul_f64 v[3:4], v[3:4], 0.5
	v_fma_f64 v[26:27], -v[3:4], v[24:25], 0.5
	v_fma_f64 v[24:25], v[24:25], v[26:27], v[24:25]
	v_fma_f64 v[3:4], v[3:4], v[26:27], v[3:4]
	v_fma_f64 v[26:27], -v[24:25], v[24:25], v[1:2]
	v_fma_f64 v[24:25], v[26:27], v[3:4], v[24:25]
	v_fma_f64 v[26:27], -v[24:25], v[24:25], v[1:2]
	v_fma_f64 v[3:4], v[26:27], v[3:4], v[24:25]
	v_ldexp_f64 v[3:4], v[3:4], v12
	v_cndmask_b32_e32 v2, v4, v2, vcc_lo
	v_cndmask_b32_e32 v1, v3, v1, vcc_lo
	v_mul_f64 v[1:2], v[22:23], v[1:2]
.LBB52_30:                              ;   in Loop: Header=BB52_10 Depth=2
	s_or_b32 exec_lo, exec_lo, s43
	v_cmp_gt_f64_e32 vcc_lo, 0, v[20:21]
	v_xor_b32_e32 v4, 0x80000000, v21
	v_xor_b32_e32 v12, 0x80000000, v17
	v_mov_b32_e32 v3, v20
	v_mov_b32_e32 v22, v16
	s_mov_b32 s43, exec_lo
                                        ; implicit-def: $vgpr24_vgpr25
	v_cndmask_b32_e32 v4, v21, v4, vcc_lo
	v_cmp_gt_f64_e32 vcc_lo, 0, v[16:17]
	v_cndmask_b32_e32 v23, v17, v12, vcc_lo
	v_cmpx_ngt_f64_e32 v[3:4], v[22:23]
	s_xor_b32 s43, exec_lo, s43
	s_cbranch_execnz .LBB52_38
; %bb.31:                               ;   in Loop: Header=BB52_10 Depth=2
	s_andn2_saveexec_b32 s43, s43
	s_cbranch_execnz .LBB52_41
.LBB52_32:                              ;   in Loop: Header=BB52_10 Depth=2
	s_or_b32 exec_lo, exec_lo, s43
	v_cmp_class_f64_e64 s44, v[24:25], 0x1f8
	s_and_saveexec_b32 s43, s44
	s_cbranch_execz .LBB52_9
	s_branch .LBB52_42
.LBB52_33:                              ;   in Loop: Header=BB52_10 Depth=2
	s_mov_b32 s44, exec_lo
	v_cmpx_lt_i32_e64 v9, v31
	s_cbranch_execz .LBB52_48
; %bb.34:                               ;   in Loop: Header=BB52_10 Depth=2
	v_mov_b32_e32 v12, v9
	s_mov_b32 s46, 0
                                        ; implicit-def: $sgpr45
                                        ; implicit-def: $sgpr48
                                        ; implicit-def: $sgpr47
	s_inst_prefetch 0x1
	s_branch .LBB52_36
	.p2align	6
.LBB52_35:                              ;   in Loop: Header=BB52_36 Depth=3
	s_or_b32 exec_lo, exec_lo, s49
	s_and_b32 s49, exec_lo, s48
	s_or_b32 s46, s49, s46
	s_andn2_b32 s45, s45, exec_lo
	s_and_b32 s49, s47, exec_lo
	s_or_b32 s45, s45, s49
	s_andn2_b32 exec_lo, exec_lo, s46
	s_cbranch_execz .LBB52_45
.LBB52_36:                              ;   Parent Loop BB52_6 Depth=1
                                        ;     Parent Loop BB52_10 Depth=2
                                        ; =>    This Inner Loop Header: Depth=3
	v_add_nc_u32_e32 v26, v13, v12
	s_or_b32 s47, s47, exec_lo
	s_or_b32 s48, s48, exec_lo
	s_mov_b32 s49, exec_lo
	v_ashrrev_i32_e32 v27, 31, v26
	v_lshlrev_b64 v[37:38], 2, v[26:27]
	v_add_co_u32 v37, vcc_lo, s20, v37
	v_add_co_ci_u32_e64 v38, null, s21, v38, vcc_lo
	global_load_dword v37, v[37:38], off
	s_waitcnt vmcnt(0)
	v_subrev_nc_u32_e32 v37, s37, v37
	v_cmpx_ne_u32_e64 v37, v14
	s_cbranch_execz .LBB52_35
; %bb.37:                               ;   in Loop: Header=BB52_36 Depth=3
	v_add_nc_u32_e32 v12, 1, v12
	s_andn2_b32 s48, s48, exec_lo
	s_andn2_b32 s47, s47, exec_lo
	v_cmp_ge_i32_e32 vcc_lo, v12, v31
	s_and_b32 s50, vcc_lo, exec_lo
	s_or_b32 s48, s48, s50
	s_branch .LBB52_35
.LBB52_38:                              ;   in Loop: Header=BB52_10 Depth=2
	v_mov_b32_e32 v24, 0
	v_mov_b32_e32 v25, 0
	s_mov_b32 s44, exec_lo
	v_cmpx_neq_f64_e32 0, v[16:17]
	s_cbranch_execz .LBB52_40
; %bb.39:                               ;   in Loop: Header=BB52_10 Depth=2
	v_div_scale_f64 v[24:25], null, v[22:23], v[22:23], v[3:4]
	v_div_scale_f64 v[39:40], vcc_lo, v[3:4], v[22:23], v[3:4]
	v_rcp_f64_e32 v[26:27], v[24:25]
	v_fma_f64 v[37:38], -v[24:25], v[26:27], 1.0
	v_fma_f64 v[26:27], v[26:27], v[37:38], v[26:27]
	v_fma_f64 v[37:38], -v[24:25], v[26:27], 1.0
	v_fma_f64 v[26:27], v[26:27], v[37:38], v[26:27]
	v_mul_f64 v[37:38], v[39:40], v[26:27]
	v_fma_f64 v[24:25], -v[24:25], v[37:38], v[39:40]
	v_div_fmas_f64 v[24:25], v[24:25], v[26:27], v[37:38]
	v_div_fixup_f64 v[3:4], v[24:25], v[22:23], v[3:4]
	v_fma_f64 v[3:4], v[3:4], v[3:4], 1.0
	v_cmp_gt_f64_e32 vcc_lo, 0x10000000, v[3:4]
	v_cndmask_b32_e64 v12, 0, 0x100, vcc_lo
	v_ldexp_f64 v[3:4], v[3:4], v12
	v_cndmask_b32_e64 v12, 0, 0xffffff80, vcc_lo
	v_rsq_f64_e32 v[24:25], v[3:4]
	v_cmp_class_f64_e64 vcc_lo, v[3:4], 0x260
	v_mul_f64 v[26:27], v[3:4], v[24:25]
	v_mul_f64 v[24:25], v[24:25], 0.5
	v_fma_f64 v[37:38], -v[24:25], v[26:27], 0.5
	v_fma_f64 v[26:27], v[26:27], v[37:38], v[26:27]
	v_fma_f64 v[24:25], v[24:25], v[37:38], v[24:25]
	v_fma_f64 v[37:38], -v[26:27], v[26:27], v[3:4]
	v_fma_f64 v[26:27], v[37:38], v[24:25], v[26:27]
	v_fma_f64 v[37:38], -v[26:27], v[26:27], v[3:4]
	v_fma_f64 v[24:25], v[37:38], v[24:25], v[26:27]
	v_ldexp_f64 v[24:25], v[24:25], v12
	v_cndmask_b32_e32 v4, v25, v4, vcc_lo
	v_cndmask_b32_e32 v3, v24, v3, vcc_lo
	v_mul_f64 v[24:25], v[22:23], v[3:4]
.LBB52_40:                              ;   in Loop: Header=BB52_10 Depth=2
	s_or_b32 exec_lo, exec_lo, s44
                                        ; implicit-def: $vgpr3_vgpr4
                                        ; implicit-def: $vgpr22_vgpr23
	s_andn2_saveexec_b32 s43, s43
	s_cbranch_execz .LBB52_32
.LBB52_41:                              ;   in Loop: Header=BB52_10 Depth=2
	v_div_scale_f64 v[24:25], null, v[3:4], v[3:4], v[22:23]
	v_div_scale_f64 v[39:40], vcc_lo, v[22:23], v[3:4], v[22:23]
	v_rcp_f64_e32 v[26:27], v[24:25]
	v_fma_f64 v[37:38], -v[24:25], v[26:27], 1.0
	v_fma_f64 v[26:27], v[26:27], v[37:38], v[26:27]
	v_fma_f64 v[37:38], -v[24:25], v[26:27], 1.0
	v_fma_f64 v[26:27], v[26:27], v[37:38], v[26:27]
	v_mul_f64 v[37:38], v[39:40], v[26:27]
	v_fma_f64 v[24:25], -v[24:25], v[37:38], v[39:40]
	v_div_fmas_f64 v[24:25], v[24:25], v[26:27], v[37:38]
	v_div_fixup_f64 v[22:23], v[24:25], v[3:4], v[22:23]
	v_fma_f64 v[22:23], v[22:23], v[22:23], 1.0
	v_cmp_gt_f64_e32 vcc_lo, 0x10000000, v[22:23]
	v_cndmask_b32_e64 v12, 0, 0x100, vcc_lo
	v_ldexp_f64 v[22:23], v[22:23], v12
	v_cndmask_b32_e64 v12, 0, 0xffffff80, vcc_lo
	v_rsq_f64_e32 v[24:25], v[22:23]
	v_cmp_class_f64_e64 vcc_lo, v[22:23], 0x260
	v_mul_f64 v[26:27], v[22:23], v[24:25]
	v_mul_f64 v[24:25], v[24:25], 0.5
	v_fma_f64 v[37:38], -v[24:25], v[26:27], 0.5
	v_fma_f64 v[26:27], v[26:27], v[37:38], v[26:27]
	v_fma_f64 v[24:25], v[24:25], v[37:38], v[24:25]
	v_fma_f64 v[37:38], -v[26:27], v[26:27], v[22:23]
	v_fma_f64 v[26:27], v[37:38], v[24:25], v[26:27]
	v_fma_f64 v[37:38], -v[26:27], v[26:27], v[22:23]
	v_fma_f64 v[24:25], v[37:38], v[24:25], v[26:27]
	v_ldexp_f64 v[24:25], v[24:25], v12
	v_cndmask_b32_e32 v23, v25, v23, vcc_lo
	v_cndmask_b32_e32 v22, v24, v22, vcc_lo
	v_mul_f64 v[24:25], v[3:4], v[22:23]
	s_or_b32 exec_lo, exec_lo, s43
	v_cmp_class_f64_e64 s44, v[24:25], 0x1f8
	s_and_saveexec_b32 s43, s44
	s_cbranch_execz .LBB52_9
.LBB52_42:                              ;   in Loop: Header=BB52_10 Depth=2
	s_mov_b32 s44, 0
                                        ; implicit-def: $vgpr3_vgpr4
	s_and_saveexec_b32 s45, s2
	s_xor_b32 s2, exec_lo, s45
	s_cbranch_execnz .LBB52_56
; %bb.43:                               ;   in Loop: Header=BB52_10 Depth=2
	s_andn2_saveexec_b32 s1, s2
	s_cbranch_execnz .LBB52_69
.LBB52_44:                              ;   in Loop: Header=BB52_10 Depth=2
	s_or_b32 exec_lo, exec_lo, s1
	s_and_b32 exec_lo, exec_lo, s44
	s_cbranch_execz .LBB52_9
	s_branch .LBB52_78
.LBB52_45:                              ;   in Loop: Header=BB52_10 Depth=2
	s_inst_prefetch 0x2
	s_or_b32 exec_lo, exec_lo, s46
	s_and_saveexec_b32 s46, s45
	s_xor_b32 s45, exec_lo, s46
	s_cbranch_execz .LBB52_47
; %bb.46:                               ;   in Loop: Header=BB52_10 Depth=2
	v_lshlrev_b64 v[37:38], 4, v[14:15]
	v_lshlrev_b64 v[26:27], 4, v[26:27]
	v_add_co_u32 v37, vcc_lo, s6, v37
	v_add_co_ci_u32_e64 v38, null, s7, v38, vcc_lo
	v_add_co_u32 v26, vcc_lo, s22, v26
	v_add_co_ci_u32_e64 v27, null, s23, v27, vcc_lo
	global_load_dwordx4 v[37:40], v[37:38], off
	global_load_dwordx4 v[41:44], v[26:27], off
	s_waitcnt vmcnt(0)
	v_mul_f64 v[26:27], v[39:40], -v[43:44]
	v_mul_f64 v[39:40], v[39:40], v[41:42]
	v_fma_f64 v[26:27], v[41:42], v[37:38], v[26:27]
	v_fma_f64 v[37:38], v[43:44], v[37:38], v[39:40]
	v_add_f64 v[22:23], v[22:23], v[26:27]
	v_add_f64 v[24:25], v[24:25], v[37:38]
.LBB52_47:                              ;   in Loop: Header=BB52_10 Depth=2
	s_or_b32 exec_lo, exec_lo, s45
.LBB52_48:                              ;   in Loop: Header=BB52_10 Depth=2
	s_or_b32 exec_lo, exec_lo, s44
	s_andn2_saveexec_b32 s43, s43
	s_cbranch_execz .LBB52_22
.LBB52_49:                              ;   in Loop: Header=BB52_10 Depth=2
	v_mov_b32_e32 v12, v19
	s_mov_b32 s45, 0
                                        ; implicit-def: $sgpr44
                                        ; implicit-def: $sgpr47
                                        ; implicit-def: $sgpr46
	s_inst_prefetch 0x1
	s_branch .LBB52_51
	.p2align	6
.LBB52_50:                              ;   in Loop: Header=BB52_51 Depth=3
	s_or_b32 exec_lo, exec_lo, s48
	s_and_b32 s48, exec_lo, s47
	s_or_b32 s45, s48, s45
	s_andn2_b32 s44, s44, exec_lo
	s_and_b32 s48, s46, exec_lo
	s_or_b32 s44, s44, s48
	s_andn2_b32 exec_lo, exec_lo, s45
	s_cbranch_execz .LBB52_53
.LBB52_51:                              ;   Parent Loop BB52_6 Depth=1
                                        ;     Parent Loop BB52_10 Depth=2
                                        ; =>    This Inner Loop Header: Depth=3
	v_add_nc_u32_e32 v26, v18, v12
	s_or_b32 s46, s46, exec_lo
	s_or_b32 s47, s47, exec_lo
	s_mov_b32 s48, exec_lo
	v_ashrrev_i32_e32 v27, 31, v26
	v_lshlrev_b64 v[37:38], 2, v[26:27]
	v_add_co_u32 v37, vcc_lo, s12, v37
	v_add_co_ci_u32_e64 v38, null, s13, v38, vcc_lo
	global_load_dword v37, v[37:38], off
	s_waitcnt vmcnt(0)
	v_subrev_nc_u32_e32 v37, s38, v37
	v_cmpx_ne_u32_e64 v37, v5
	s_cbranch_execz .LBB52_50
; %bb.52:                               ;   in Loop: Header=BB52_51 Depth=3
	v_add_nc_u32_e32 v12, 1, v12
	s_andn2_b32 s47, s47, exec_lo
	s_andn2_b32 s46, s46, exec_lo
	v_cmp_ge_i32_e32 vcc_lo, v12, v36
	s_and_b32 s49, vcc_lo, exec_lo
	s_or_b32 s47, s47, s49
	s_branch .LBB52_50
.LBB52_53:                              ;   in Loop: Header=BB52_10 Depth=2
	s_inst_prefetch 0x2
	s_or_b32 exec_lo, exec_lo, s45
	s_and_saveexec_b32 s45, s44
	s_xor_b32 s44, exec_lo, s45
	s_cbranch_execz .LBB52_55
; %bb.54:                               ;   in Loop: Header=BB52_10 Depth=2
	v_lshlrev_b64 v[26:27], 4, v[26:27]
	v_add_co_u32 v26, vcc_lo, s14, v26
	v_add_co_ci_u32_e64 v27, null, s15, v27, vcc_lo
	global_load_dwordx4 v[37:40], v[26:27], off
	s_waitcnt vmcnt(0)
	v_add_f64 v[22:23], v[22:23], v[37:38]
	v_add_f64 v[24:25], v[24:25], v[39:40]
.LBB52_55:                              ;   in Loop: Header=BB52_10 Depth=2
	s_or_b32 exec_lo, exec_lo, s44
	s_or_b32 exec_lo, exec_lo, s43
	s_mov_b32 s43, exec_lo
	v_cmpx_eq_u32_e64 v5, v14
	s_cbranch_execnz .LBB52_23
	s_branch .LBB52_24
.LBB52_56:                              ;   in Loop: Header=BB52_10 Depth=2
	s_mov_b32 s45, exec_lo
                                        ; implicit-def: $vgpr3_vgpr4
	v_cmpx_ge_i32_e64 v5, v14
	s_xor_b32 s45, exec_lo, s45
	s_cbranch_execz .LBB52_58
; %bb.57:                               ;   in Loop: Header=BB52_10 Depth=2
	v_lshlrev_b64 v[3:4], 4, v[14:15]
	s_mov_b32 s44, exec_lo
                                        ; implicit-def: $vgpr19
                                        ; implicit-def: $vgpr18
                                        ; implicit-def: $vgpr36
	v_add_co_u32 v3, vcc_lo, s6, v3
	v_add_co_ci_u32_e64 v4, null, s7, v4, vcc_lo
	global_store_dwordx2 v[3:4], v[20:21], off
                                        ; implicit-def: $vgpr20_vgpr21
.LBB52_58:                              ;   in Loop: Header=BB52_10 Depth=2
	s_andn2_saveexec_b32 s45, s45
	s_cbranch_execz .LBB52_68
; %bb.59:                               ;   in Loop: Header=BB52_10 Depth=2
	s_mov_b32 s47, s44
                                        ; implicit-def: $vgpr3_vgpr4
	s_and_saveexec_b32 s46, s1
	s_cbranch_execz .LBB52_67
; %bb.60:                               ;   in Loop: Header=BB52_10 Depth=2
	s_mov_b32 s47, 0
                                        ; implicit-def: $sgpr1
                                        ; implicit-def: $sgpr49
                                        ; implicit-def: $sgpr48
	s_inst_prefetch 0x1
	s_branch .LBB52_62
	.p2align	6
.LBB52_61:                              ;   in Loop: Header=BB52_62 Depth=3
	s_or_b32 exec_lo, exec_lo, s50
	s_and_b32 s50, exec_lo, s49
	s_or_b32 s47, s50, s47
	s_andn2_b32 s1, s1, exec_lo
	s_and_b32 s50, s48, exec_lo
	s_or_b32 s1, s1, s50
	s_andn2_b32 exec_lo, exec_lo, s47
	s_cbranch_execz .LBB52_64
.LBB52_62:                              ;   Parent Loop BB52_6 Depth=1
                                        ;     Parent Loop BB52_10 Depth=2
                                        ; =>    This Inner Loop Header: Depth=3
	v_add_nc_u32_e32 v14, v18, v19
	s_or_b32 s48, s48, exec_lo
	s_or_b32 s49, s49, exec_lo
	s_mov_b32 s50, exec_lo
	v_ashrrev_i32_e32 v15, 31, v14
	v_lshlrev_b64 v[3:4], 2, v[14:15]
	v_add_co_u32 v3, vcc_lo, s12, v3
	v_add_co_ci_u32_e64 v4, null, s13, v4, vcc_lo
	global_load_dword v3, v[3:4], off
	s_waitcnt vmcnt(0)
	v_subrev_nc_u32_e32 v3, s38, v3
	v_cmpx_ne_u32_e64 v3, v5
	s_cbranch_execz .LBB52_61
; %bb.63:                               ;   in Loop: Header=BB52_62 Depth=3
	v_add_nc_u32_e32 v19, 1, v19
	s_andn2_b32 s49, s49, exec_lo
	s_andn2_b32 s48, s48, exec_lo
	v_cmp_ge_i32_e32 vcc_lo, v19, v36
	s_and_b32 s51, vcc_lo, exec_lo
	s_or_b32 s49, s49, s51
	s_branch .LBB52_61
.LBB52_64:                              ;   in Loop: Header=BB52_10 Depth=2
	s_inst_prefetch 0x2
	s_or_b32 exec_lo, exec_lo, s47
	s_mov_b32 s47, s44
                                        ; implicit-def: $vgpr3_vgpr4
	s_and_saveexec_b32 s48, s1
	s_xor_b32 s1, exec_lo, s48
	s_cbranch_execz .LBB52_66
; %bb.65:                               ;   in Loop: Header=BB52_10 Depth=2
	v_lshlrev_b64 v[3:4], 4, v[14:15]
	s_or_b32 s47, s44, exec_lo
	v_add_co_u32 v3, vcc_lo, s14, v3
	v_add_co_ci_u32_e64 v4, null, s15, v4, vcc_lo
	global_store_dwordx2 v[3:4], v[20:21], off
.LBB52_66:                              ;   in Loop: Header=BB52_10 Depth=2
	s_or_b32 exec_lo, exec_lo, s1
	s_andn2_b32 s1, s44, exec_lo
	s_and_b32 s47, s47, exec_lo
	s_or_b32 s47, s1, s47
.LBB52_67:                              ;   in Loop: Header=BB52_10 Depth=2
	s_or_b32 exec_lo, exec_lo, s46
	s_andn2_b32 s1, s44, exec_lo
	s_and_b32 s44, s47, exec_lo
	s_or_b32 s44, s1, s44
.LBB52_68:                              ;   in Loop: Header=BB52_10 Depth=2
	s_or_b32 exec_lo, exec_lo, s45
	s_and_b32 s44, s44, exec_lo
                                        ; implicit-def: $vgpr20_vgpr21
                                        ; implicit-def: $vgpr14_vgpr15
	s_andn2_saveexec_b32 s1, s2
	s_cbranch_execz .LBB52_44
.LBB52_69:                              ;   in Loop: Header=BB52_10 Depth=2
	s_mov_b32 s45, s44
	s_mov_b32 s2, exec_lo
                                        ; implicit-def: $vgpr3_vgpr4
	v_cmpx_lt_i32_e64 v9, v31
	s_cbranch_execz .LBB52_77
; %bb.70:                               ;   in Loop: Header=BB52_10 Depth=2
	s_mov_b32 s46, 0
                                        ; implicit-def: $sgpr45
                                        ; implicit-def: $sgpr48
                                        ; implicit-def: $sgpr47
	s_inst_prefetch 0x1
	s_branch .LBB52_72
	.p2align	6
.LBB52_71:                              ;   in Loop: Header=BB52_72 Depth=3
	s_or_b32 exec_lo, exec_lo, s49
	s_and_b32 s49, exec_lo, s48
	s_or_b32 s46, s49, s46
	s_andn2_b32 s45, s45, exec_lo
	s_and_b32 s49, s47, exec_lo
	s_or_b32 s45, s45, s49
	s_andn2_b32 exec_lo, exec_lo, s46
	s_cbranch_execz .LBB52_74
.LBB52_72:                              ;   Parent Loop BB52_6 Depth=1
                                        ;     Parent Loop BB52_10 Depth=2
                                        ; =>    This Inner Loop Header: Depth=3
	v_add_nc_u32_e32 v18, v13, v9
	s_or_b32 s47, s47, exec_lo
	s_or_b32 s48, s48, exec_lo
	s_mov_b32 s49, exec_lo
	v_ashrrev_i32_e32 v19, 31, v18
	v_lshlrev_b64 v[3:4], 2, v[18:19]
	v_add_co_u32 v3, vcc_lo, s20, v3
	v_add_co_ci_u32_e64 v4, null, s21, v4, vcc_lo
	global_load_dword v3, v[3:4], off
	s_waitcnt vmcnt(0)
	v_subrev_nc_u32_e32 v3, s37, v3
	v_cmpx_ne_u32_e64 v3, v14
	s_cbranch_execz .LBB52_71
; %bb.73:                               ;   in Loop: Header=BB52_72 Depth=3
	v_add_nc_u32_e32 v9, 1, v9
	s_andn2_b32 s48, s48, exec_lo
	s_andn2_b32 s47, s47, exec_lo
	v_cmp_ge_i32_e32 vcc_lo, v9, v31
	s_and_b32 s50, vcc_lo, exec_lo
	s_or_b32 s48, s48, s50
	s_branch .LBB52_71
.LBB52_74:                              ;   in Loop: Header=BB52_10 Depth=2
	s_inst_prefetch 0x2
	s_or_b32 exec_lo, exec_lo, s46
	s_mov_b32 s46, s44
                                        ; implicit-def: $vgpr3_vgpr4
	s_and_saveexec_b32 s47, s45
	s_xor_b32 s45, exec_lo, s47
	s_cbranch_execz .LBB52_76
; %bb.75:                               ;   in Loop: Header=BB52_10 Depth=2
	v_lshlrev_b64 v[3:4], 4, v[18:19]
	s_or_b32 s46, s44, exec_lo
	v_add_co_u32 v3, vcc_lo, s22, v3
	v_add_co_ci_u32_e64 v4, null, s23, v4, vcc_lo
	global_store_dwordx2 v[3:4], v[20:21], off
.LBB52_76:                              ;   in Loop: Header=BB52_10 Depth=2
	s_or_b32 exec_lo, exec_lo, s45
	s_andn2_b32 s45, s44, exec_lo
	s_and_b32 s46, s46, exec_lo
	s_or_b32 s45, s45, s46
.LBB52_77:                              ;   in Loop: Header=BB52_10 Depth=2
	s_or_b32 exec_lo, exec_lo, s2
	s_andn2_b32 s2, s44, exec_lo
	s_and_b32 s44, s45, exec_lo
	s_or_b32 s44, s2, s44
	s_or_b32 exec_lo, exec_lo, s1
	s_and_b32 exec_lo, exec_lo, s44
	s_cbranch_execz .LBB52_9
.LBB52_78:                              ;   in Loop: Header=BB52_10 Depth=2
	global_store_dwordx2 v[3:4], v[16:17], off offset:8
	s_branch .LBB52_9
.LBB52_79:
	s_or_b32 exec_lo, exec_lo, s39
.LBB52_80:
	s_or_b32 exec_lo, exec_lo, s34
.LBB52_81:
	s_or_b32 exec_lo, exec_lo, s3
	v_mbcnt_lo_u32_b32 v5, -1, 0
	v_xor_b32_e32 v1, 4, v5
	v_xor_b32_e32 v3, 2, v5
	;; [unrolled: 1-line block ×3, first 2 shown]
	v_cmp_gt_i32_e32 vcc_lo, 32, v1
	v_cmp_gt_i32_e64 s0, 32, v3
	v_cndmask_b32_e32 v1, v5, v1, vcc_lo
	v_cndmask_b32_e64 v3, v5, v3, s0
	v_cmp_gt_i32_e64 s0, 32, v6
	v_lshlrev_b32_e32 v2, 2, v1
	v_lshlrev_b32_e32 v3, 2, v3
	v_cndmask_b32_e64 v5, v5, v6, s0
	s_mov_b32 s0, exec_lo
	ds_bpermute_b32 v1, v2, v7
	ds_bpermute_b32 v2, v2, v8
	v_lshlrev_b32_e32 v5, 2, v5
	s_waitcnt lgkmcnt(0)
	v_cmp_lt_f64_e32 vcc_lo, v[7:8], v[1:2]
	v_cndmask_b32_e32 v2, v8, v2, vcc_lo
	v_cndmask_b32_e32 v1, v7, v1, vcc_lo
	ds_bpermute_b32 v4, v3, v2
	ds_bpermute_b32 v3, v3, v1
	s_waitcnt lgkmcnt(0)
	v_cmp_lt_f64_e32 vcc_lo, v[1:2], v[3:4]
	v_cndmask_b32_e32 v2, v2, v4, vcc_lo
	v_cndmask_b32_e32 v1, v1, v3, vcc_lo
	ds_bpermute_b32 v3, v5, v1
	ds_bpermute_b32 v5, v5, v2
	v_cmpx_eq_u32_e32 7, v29
	s_cbranch_execz .LBB52_83
; %bb.82:
	s_waitcnt lgkmcnt(0)
	v_mov_b32_e32 v4, v5
	v_cmp_lt_f64_e32 vcc_lo, v[1:2], v[3:4]
	v_lshlrev_b32_e32 v4, 3, v28
	v_cndmask_b32_e32 v2, v2, v5, vcc_lo
	v_cndmask_b32_e32 v1, v1, v3, vcc_lo
	ds_write_b64 v4, v[1:2]
.LBB52_83:
	s_or_b32 exec_lo, exec_lo, s0
	v_lshlrev_b32_e32 v1, 3, v0
	s_mov_b32 s0, exec_lo
	s_waitcnt lgkmcnt(0)
	s_waitcnt_vscnt null, 0x0
	s_barrier
	buffer_gl0_inv
	v_cmpx_gt_u32_e32 64, v0
	s_cbranch_execz .LBB52_85
; %bb.84:
	ds_read2st64_b64 v[2:5], v1 offset1:1
	s_waitcnt lgkmcnt(0)
	v_cmp_lt_f64_e32 vcc_lo, v[2:3], v[4:5]
	v_cndmask_b32_e32 v3, v3, v5, vcc_lo
	v_cndmask_b32_e32 v2, v2, v4, vcc_lo
	ds_write_b64 v1, v[2:3]
.LBB52_85:
	s_or_b32 exec_lo, exec_lo, s0
	s_mov_b32 s0, exec_lo
	s_waitcnt lgkmcnt(0)
	s_barrier
	buffer_gl0_inv
	v_cmpx_gt_u32_e32 32, v0
	s_cbranch_execz .LBB52_87
; %bb.86:
	ds_read2_b64 v[2:5], v1 offset1:32
	s_waitcnt lgkmcnt(0)
	v_cmp_lt_f64_e32 vcc_lo, v[2:3], v[4:5]
	v_cndmask_b32_e32 v3, v3, v5, vcc_lo
	v_cndmask_b32_e32 v2, v2, v4, vcc_lo
	ds_write_b64 v1, v[2:3]
.LBB52_87:
	s_or_b32 exec_lo, exec_lo, s0
	s_mov_b32 s0, exec_lo
	s_waitcnt lgkmcnt(0)
	s_barrier
	buffer_gl0_inv
	v_cmpx_gt_u32_e32 16, v0
	s_cbranch_execz .LBB52_89
; %bb.88:
	ds_read2_b64 v[2:5], v1 offset1:16
	s_waitcnt lgkmcnt(0)
	v_cmp_lt_f64_e32 vcc_lo, v[2:3], v[4:5]
	v_cndmask_b32_e32 v3, v3, v5, vcc_lo
	v_cndmask_b32_e32 v2, v2, v4, vcc_lo
	ds_write_b64 v1, v[2:3]
.LBB52_89:
	;; [unrolled: 15-line block ×5, first 2 shown]
	s_or_b32 exec_lo, exec_lo, s0
	v_cmp_eq_u32_e32 vcc_lo, 0, v0
	s_waitcnt lgkmcnt(0)
	s_barrier
	buffer_gl0_inv
	s_and_saveexec_b32 s1, vcc_lo
	s_cbranch_execz .LBB52_97
; %bb.96:
	v_mov_b32_e32 v4, 0
	ds_read_b128 v[0:3], v4
	s_waitcnt lgkmcnt(0)
	v_cmp_lt_f64_e64 s0, v[0:1], v[2:3]
	v_cndmask_b32_e64 v1, v1, v3, s0
	v_cndmask_b32_e64 v0, v0, v2, s0
	ds_write_b64 v4, v[0:1]
.LBB52_97:
	s_or_b32 exec_lo, exec_lo, s1
	s_waitcnt lgkmcnt(0)
	s_barrier
	buffer_gl0_inv
	s_and_saveexec_b32 s0, vcc_lo
	s_cbranch_execz .LBB52_101
; %bb.98:
	v_mbcnt_lo_u32_b32 v0, exec_lo, 0
	s_mov_b32 s6, 0
	v_cmp_eq_u32_e32 vcc_lo, 0, v0
	s_and_b32 exec_lo, exec_lo, vcc_lo
	s_cbranch_execz .LBB52_101
; %bb.99:
	s_load_dwordx4 s[0:3], s[4:5], 0x88
	v_mov_b32_e32 v6, 0
	s_waitcnt lgkmcnt(0)
	s_clause 0x1
	global_load_dwordx2 v[0:1], v6, s[2:3]
	global_load_dwordx2 v[2:3], v6, s[0:1]
	ds_read_b64 v[4:5], v6
	s_waitcnt vmcnt(1) lgkmcnt(0)
	v_div_scale_f64 v[7:8], null, v[0:1], v[0:1], v[4:5]
	v_rcp_f64_e32 v[9:10], v[7:8]
	v_fma_f64 v[11:12], -v[7:8], v[9:10], 1.0
	v_fma_f64 v[9:10], v[9:10], v[11:12], v[9:10]
	v_fma_f64 v[11:12], -v[7:8], v[9:10], 1.0
	v_fma_f64 v[9:10], v[9:10], v[11:12], v[9:10]
	v_div_scale_f64 v[11:12], vcc_lo, v[4:5], v[0:1], v[4:5]
	v_mul_f64 v[13:14], v[11:12], v[9:10]
	v_fma_f64 v[7:8], -v[7:8], v[13:14], v[11:12]
	v_div_fmas_f64 v[7:8], v[7:8], v[9:10], v[13:14]
	v_div_fixup_f64 v[0:1], v[7:8], v[0:1], v[4:5]
	v_max_f64 v[4:5], v[0:1], v[0:1]
.LBB52_100:                             ; =>This Inner Loop Header: Depth=1
	s_waitcnt vmcnt(0)
	v_max_f64 v[0:1], v[2:3], v[2:3]
	v_max_f64 v[0:1], v[0:1], v[4:5]
	global_atomic_cmpswap_x2 v[0:1], v6, v[0:3], s[0:1] glc
	s_waitcnt vmcnt(0)
	v_cmp_eq_u64_e32 vcc_lo, v[0:1], v[2:3]
	v_mov_b32_e32 v3, v1
	v_mov_b32_e32 v2, v0
	s_or_b32 s6, vcc_lo, s6
	s_andn2_b32 exec_lo, exec_lo, s6
	s_cbranch_execnz .LBB52_100
.LBB52_101:
	s_endpgm
	.section	.rodata,"a",@progbits
	.p2align	6, 0x0
	.amdhsa_kernel _ZN9rocsparseL17kernel_correctionILi1024ELi8E21rocsparse_complex_numIdEiiEEvT3_T2_PKS4_S6_PKS3_PKT1_21rocsparse_index_base_S6_S6_S8_PS9_SC_S6_S6_S8_SD_SC_SD_PNS_15floating_traitsIS9_E6data_tEPKSG_
		.amdhsa_group_segment_fixed_size 1024
		.amdhsa_private_segment_fixed_size 0
		.amdhsa_kernarg_size 152
		.amdhsa_user_sgpr_count 6
		.amdhsa_user_sgpr_private_segment_buffer 1
		.amdhsa_user_sgpr_dispatch_ptr 0
		.amdhsa_user_sgpr_queue_ptr 0
		.amdhsa_user_sgpr_kernarg_segment_ptr 1
		.amdhsa_user_sgpr_dispatch_id 0
		.amdhsa_user_sgpr_flat_scratch_init 0
		.amdhsa_user_sgpr_private_segment_size 0
		.amdhsa_wavefront_size32 1
		.amdhsa_uses_dynamic_stack 0
		.amdhsa_system_sgpr_private_segment_wavefront_offset 0
		.amdhsa_system_sgpr_workgroup_id_x 1
		.amdhsa_system_sgpr_workgroup_id_y 0
		.amdhsa_system_sgpr_workgroup_id_z 0
		.amdhsa_system_sgpr_workgroup_info 0
		.amdhsa_system_vgpr_workitem_id 0
		.amdhsa_next_free_vgpr 49
		.amdhsa_next_free_sgpr 52
		.amdhsa_reserve_vcc 1
		.amdhsa_reserve_flat_scratch 0
		.amdhsa_float_round_mode_32 0
		.amdhsa_float_round_mode_16_64 0
		.amdhsa_float_denorm_mode_32 3
		.amdhsa_float_denorm_mode_16_64 3
		.amdhsa_dx10_clamp 1
		.amdhsa_ieee_mode 1
		.amdhsa_fp16_overflow 0
		.amdhsa_workgroup_processor_mode 1
		.amdhsa_memory_ordered 1
		.amdhsa_forward_progress 1
		.amdhsa_shared_vgpr_count 0
		.amdhsa_exception_fp_ieee_invalid_op 0
		.amdhsa_exception_fp_denorm_src 0
		.amdhsa_exception_fp_ieee_div_zero 0
		.amdhsa_exception_fp_ieee_overflow 0
		.amdhsa_exception_fp_ieee_underflow 0
		.amdhsa_exception_fp_ieee_inexact 0
		.amdhsa_exception_int_div_zero 0
	.end_amdhsa_kernel
	.section	.text._ZN9rocsparseL17kernel_correctionILi1024ELi8E21rocsparse_complex_numIdEiiEEvT3_T2_PKS4_S6_PKS3_PKT1_21rocsparse_index_base_S6_S6_S8_PS9_SC_S6_S6_S8_SD_SC_SD_PNS_15floating_traitsIS9_E6data_tEPKSG_,"axG",@progbits,_ZN9rocsparseL17kernel_correctionILi1024ELi8E21rocsparse_complex_numIdEiiEEvT3_T2_PKS4_S6_PKS3_PKT1_21rocsparse_index_base_S6_S6_S8_PS9_SC_S6_S6_S8_SD_SC_SD_PNS_15floating_traitsIS9_E6data_tEPKSG_,comdat
.Lfunc_end52:
	.size	_ZN9rocsparseL17kernel_correctionILi1024ELi8E21rocsparse_complex_numIdEiiEEvT3_T2_PKS4_S6_PKS3_PKT1_21rocsparse_index_base_S6_S6_S8_PS9_SC_S6_S6_S8_SD_SC_SD_PNS_15floating_traitsIS9_E6data_tEPKSG_, .Lfunc_end52-_ZN9rocsparseL17kernel_correctionILi1024ELi8E21rocsparse_complex_numIdEiiEEvT3_T2_PKS4_S6_PKS3_PKT1_21rocsparse_index_base_S6_S6_S8_PS9_SC_S6_S6_S8_SD_SC_SD_PNS_15floating_traitsIS9_E6data_tEPKSG_
                                        ; -- End function
	.set _ZN9rocsparseL17kernel_correctionILi1024ELi8E21rocsparse_complex_numIdEiiEEvT3_T2_PKS4_S6_PKS3_PKT1_21rocsparse_index_base_S6_S6_S8_PS9_SC_S6_S6_S8_SD_SC_SD_PNS_15floating_traitsIS9_E6data_tEPKSG_.num_vgpr, 49
	.set _ZN9rocsparseL17kernel_correctionILi1024ELi8E21rocsparse_complex_numIdEiiEEvT3_T2_PKS4_S6_PKS3_PKT1_21rocsparse_index_base_S6_S6_S8_PS9_SC_S6_S6_S8_SD_SC_SD_PNS_15floating_traitsIS9_E6data_tEPKSG_.num_agpr, 0
	.set _ZN9rocsparseL17kernel_correctionILi1024ELi8E21rocsparse_complex_numIdEiiEEvT3_T2_PKS4_S6_PKS3_PKT1_21rocsparse_index_base_S6_S6_S8_PS9_SC_S6_S6_S8_SD_SC_SD_PNS_15floating_traitsIS9_E6data_tEPKSG_.numbered_sgpr, 52
	.set _ZN9rocsparseL17kernel_correctionILi1024ELi8E21rocsparse_complex_numIdEiiEEvT3_T2_PKS4_S6_PKS3_PKT1_21rocsparse_index_base_S6_S6_S8_PS9_SC_S6_S6_S8_SD_SC_SD_PNS_15floating_traitsIS9_E6data_tEPKSG_.num_named_barrier, 0
	.set _ZN9rocsparseL17kernel_correctionILi1024ELi8E21rocsparse_complex_numIdEiiEEvT3_T2_PKS4_S6_PKS3_PKT1_21rocsparse_index_base_S6_S6_S8_PS9_SC_S6_S6_S8_SD_SC_SD_PNS_15floating_traitsIS9_E6data_tEPKSG_.private_seg_size, 0
	.set _ZN9rocsparseL17kernel_correctionILi1024ELi8E21rocsparse_complex_numIdEiiEEvT3_T2_PKS4_S6_PKS3_PKT1_21rocsparse_index_base_S6_S6_S8_PS9_SC_S6_S6_S8_SD_SC_SD_PNS_15floating_traitsIS9_E6data_tEPKSG_.uses_vcc, 1
	.set _ZN9rocsparseL17kernel_correctionILi1024ELi8E21rocsparse_complex_numIdEiiEEvT3_T2_PKS4_S6_PKS3_PKT1_21rocsparse_index_base_S6_S6_S8_PS9_SC_S6_S6_S8_SD_SC_SD_PNS_15floating_traitsIS9_E6data_tEPKSG_.uses_flat_scratch, 0
	.set _ZN9rocsparseL17kernel_correctionILi1024ELi8E21rocsparse_complex_numIdEiiEEvT3_T2_PKS4_S6_PKS3_PKT1_21rocsparse_index_base_S6_S6_S8_PS9_SC_S6_S6_S8_SD_SC_SD_PNS_15floating_traitsIS9_E6data_tEPKSG_.has_dyn_sized_stack, 0
	.set _ZN9rocsparseL17kernel_correctionILi1024ELi8E21rocsparse_complex_numIdEiiEEvT3_T2_PKS4_S6_PKS3_PKT1_21rocsparse_index_base_S6_S6_S8_PS9_SC_S6_S6_S8_SD_SC_SD_PNS_15floating_traitsIS9_E6data_tEPKSG_.has_recursion, 0
	.set _ZN9rocsparseL17kernel_correctionILi1024ELi8E21rocsparse_complex_numIdEiiEEvT3_T2_PKS4_S6_PKS3_PKT1_21rocsparse_index_base_S6_S6_S8_PS9_SC_S6_S6_S8_SD_SC_SD_PNS_15floating_traitsIS9_E6data_tEPKSG_.has_indirect_call, 0
	.section	.AMDGPU.csdata,"",@progbits
; Kernel info:
; codeLenInByte = 4892
; TotalNumSgprs: 54
; NumVgprs: 49
; ScratchSize: 0
; MemoryBound: 1
; FloatMode: 240
; IeeeMode: 1
; LDSByteSize: 1024 bytes/workgroup (compile time only)
; SGPRBlocks: 0
; VGPRBlocks: 6
; NumSGPRsForWavesPerEU: 54
; NumVGPRsForWavesPerEU: 49
; Occupancy: 16
; WaveLimiterHint : 1
; COMPUTE_PGM_RSRC2:SCRATCH_EN: 0
; COMPUTE_PGM_RSRC2:USER_SGPR: 6
; COMPUTE_PGM_RSRC2:TRAP_HANDLER: 0
; COMPUTE_PGM_RSRC2:TGID_X_EN: 1
; COMPUTE_PGM_RSRC2:TGID_Y_EN: 0
; COMPUTE_PGM_RSRC2:TGID_Z_EN: 0
; COMPUTE_PGM_RSRC2:TIDIG_COMP_CNT: 0
	.section	.text._ZN9rocsparseL17kernel_correctionILi1024ELi16E21rocsparse_complex_numIdEiiEEvT3_T2_PKS4_S6_PKS3_PKT1_21rocsparse_index_base_S6_S6_S8_PS9_SC_S6_S6_S8_SD_SC_SD_PNS_15floating_traitsIS9_E6data_tEPKSG_,"axG",@progbits,_ZN9rocsparseL17kernel_correctionILi1024ELi16E21rocsparse_complex_numIdEiiEEvT3_T2_PKS4_S6_PKS3_PKT1_21rocsparse_index_base_S6_S6_S8_PS9_SC_S6_S6_S8_SD_SC_SD_PNS_15floating_traitsIS9_E6data_tEPKSG_,comdat
	.globl	_ZN9rocsparseL17kernel_correctionILi1024ELi16E21rocsparse_complex_numIdEiiEEvT3_T2_PKS4_S6_PKS3_PKT1_21rocsparse_index_base_S6_S6_S8_PS9_SC_S6_S6_S8_SD_SC_SD_PNS_15floating_traitsIS9_E6data_tEPKSG_ ; -- Begin function _ZN9rocsparseL17kernel_correctionILi1024ELi16E21rocsparse_complex_numIdEiiEEvT3_T2_PKS4_S6_PKS3_PKT1_21rocsparse_index_base_S6_S6_S8_PS9_SC_S6_S6_S8_SD_SC_SD_PNS_15floating_traitsIS9_E6data_tEPKSG_
	.p2align	8
	.type	_ZN9rocsparseL17kernel_correctionILi1024ELi16E21rocsparse_complex_numIdEiiEEvT3_T2_PKS4_S6_PKS3_PKT1_21rocsparse_index_base_S6_S6_S8_PS9_SC_S6_S6_S8_SD_SC_SD_PNS_15floating_traitsIS9_E6data_tEPKSG_,@function
_ZN9rocsparseL17kernel_correctionILi1024ELi16E21rocsparse_complex_numIdEiiEEvT3_T2_PKS4_S6_PKS3_PKT1_21rocsparse_index_base_S6_S6_S8_PS9_SC_S6_S6_S8_SD_SC_SD_PNS_15floating_traitsIS9_E6data_tEPKSG_: ; @_ZN9rocsparseL17kernel_correctionILi1024ELi16E21rocsparse_complex_numIdEiiEEvT3_T2_PKS4_S6_PKS3_PKT1_21rocsparse_index_base_S6_S6_S8_PS9_SC_S6_S6_S8_SD_SC_SD_PNS_15floating_traitsIS9_E6data_tEPKSG_
; %bb.0:
	s_load_dword s33, s[4:5], 0x0
	v_lshrrev_b32_e32 v28, 4, v0
	s_lshl_b32 s35, s6, 10
	v_mov_b32_e32 v7, 0
	v_and_b32_e32 v29, 15, v0
	v_mov_b32_e32 v8, 0
	v_or_b32_e32 v5, s35, v28
	s_mov_b32 s3, exec_lo
	s_waitcnt lgkmcnt(0)
	v_cmpx_gt_i32_e64 s33, v5
	s_cbranch_execz .LBB53_81
; %bb.1:
	v_mov_b32_e32 v7, 0
	v_mov_b32_e32 v8, 0
	s_addk_i32 s35, 0x400
	s_mov_b32 s34, exec_lo
	v_cmpx_gt_u32_e64 s35, v5
	s_cbranch_execz .LBB53_80
; %bb.2:
	s_clause 0x6
	s_load_dword s36, s[4:5], 0x28
	s_load_dwordx8 s[8:15], s[4:5], 0x58
	s_load_dwordx8 s[16:23], s[4:5], 0x30
	s_load_dwordx8 s[24:31], s[4:5], 0x8
	s_load_dword s37, s[4:5], 0x50
	s_load_dwordx2 s[6:7], s[4:5], 0x80
	s_load_dword s38, s[4:5], 0x78
	v_mov_b32_e32 v7, 0
	v_mov_b32_e32 v8, 0
	;; [unrolled: 1-line block ×3, first 2 shown]
	s_mov_b32 s39, 0
	s_waitcnt lgkmcnt(0)
	v_subrev_nc_u32_e32 v30, s36, v29
	s_branch .LBB53_6
.LBB53_3:                               ;   in Loop: Header=BB53_6 Depth=1
	s_or_b32 exec_lo, exec_lo, s42
.LBB53_4:                               ;   in Loop: Header=BB53_6 Depth=1
	s_or_b32 exec_lo, exec_lo, s41
.LBB53_5:                               ;   in Loop: Header=BB53_6 Depth=1
	s_or_b32 exec_lo, exec_lo, s40
	v_add_nc_u32_e32 v5, 64, v5
	v_cmp_le_u32_e32 vcc_lo, s35, v5
	s_or_b32 s39, vcc_lo, s39
	s_andn2_b32 exec_lo, exec_lo, s39
	s_cbranch_execz .LBB53_79
.LBB53_6:                               ; =>This Loop Header: Depth=1
                                        ;     Child Loop BB53_10 Depth 2
                                        ;       Child Loop BB53_14 Depth 3
                                        ;       Child Loop BB53_36 Depth 3
	;; [unrolled: 1-line block ×5, first 2 shown]
	s_mov_b32 s40, exec_lo
	v_cmpx_gt_i32_e64 s33, v5
	s_cbranch_execz .LBB53_5
; %bb.7:                                ;   in Loop: Header=BB53_6 Depth=1
	v_ashrrev_i32_e32 v6, 31, v5
	s_mov_b32 s41, exec_lo
	v_lshlrev_b64 v[1:2], 2, v[5:6]
	v_add_co_u32 v3, vcc_lo, s24, v1
	v_add_co_ci_u32_e64 v4, null, s25, v2, vcc_lo
	v_add_co_u32 v11, vcc_lo, s26, v1
	v_add_co_ci_u32_e64 v12, null, s27, v2, vcc_lo
	global_load_dword v3, v[3:4], off
	global_load_dword v4, v[11:12], off
	s_waitcnt vmcnt(1)
	v_add_nc_u32_e32 v11, v30, v3
	s_waitcnt vmcnt(0)
	v_subrev_nc_u32_e32 v6, s36, v4
	v_cmpx_lt_i32_e64 v11, v6
	s_cbranch_execz .LBB53_4
; %bb.8:                                ;   in Loop: Header=BB53_6 Depth=1
	v_add_co_u32 v3, vcc_lo, s16, v1
	v_add_co_ci_u32_e64 v4, null, s17, v2, vcc_lo
	v_add_co_u32 v1, vcc_lo, s18, v1
	v_add_co_ci_u32_e64 v2, null, s19, v2, vcc_lo
	global_load_dword v3, v[3:4], off
	s_mov_b32 s42, 0
	global_load_dword v4, v[1:2], off
	s_waitcnt vmcnt(1)
	v_subrev_nc_u32_e32 v13, s37, v3
	s_waitcnt vmcnt(0)
	v_sub_nc_u32_e32 v31, v4, v3
	v_ashrrev_i32_e32 v14, 31, v13
	v_cmp_lt_i32_e64 s0, 0, v31
	v_lshlrev_b64 v[1:2], 2, v[13:14]
	v_lshlrev_b64 v[3:4], 4, v[13:14]
	v_add_co_u32 v32, vcc_lo, s20, v1
	v_add_co_ci_u32_e64 v33, null, s21, v2, vcc_lo
	v_add_co_u32 v34, vcc_lo, s22, v3
	v_add_co_ci_u32_e64 v35, null, s23, v4, vcc_lo
	s_branch .LBB53_10
.LBB53_9:                               ;   in Loop: Header=BB53_10 Depth=2
	s_or_b32 exec_lo, exec_lo, s43
	v_cmp_nlg_f64_e64 s2, 0x7ff00000, |v[1:2]|
	v_cmp_gt_f64_e32 vcc_lo, v[7:8], v[1:2]
	v_add_nc_u32_e32 v11, 16, v11
	v_cmp_ge_i32_e64 s1, v11, v6
	s_or_b32 vcc_lo, s2, vcc_lo
	s_or_b32 s42, s1, s42
	v_cndmask_b32_e32 v8, v2, v8, vcc_lo
	v_cndmask_b32_e32 v7, v1, v7, vcc_lo
	s_andn2_b32 exec_lo, exec_lo, s42
	s_cbranch_execz .LBB53_3
.LBB53_10:                              ;   Parent Loop BB53_6 Depth=1
                                        ; =>  This Loop Header: Depth=2
                                        ;       Child Loop BB53_14 Depth 3
                                        ;       Child Loop BB53_36 Depth 3
                                        ;       Child Loop BB53_51 Depth 3
                                        ;       Child Loop BB53_62 Depth 3
                                        ;       Child Loop BB53_72 Depth 3
	v_ashrrev_i32_e32 v12, 31, v11
	v_mov_b32_e32 v9, 0
	v_mov_b32_e32 v22, 0
	v_mov_b32_e32 v24, 0
	v_mov_b32_e32 v23, 0
	v_lshlrev_b64 v[1:2], 2, v[11:12]
	v_mov_b32_e32 v25, 0
	v_mov_b32_e32 v19, v9
	v_add_co_u32 v1, vcc_lo, s28, v1
	v_add_co_ci_u32_e64 v2, null, s29, v2, vcc_lo
	global_load_dword v1, v[1:2], off
	s_waitcnt vmcnt(0)
	v_subrev_nc_u32_e32 v14, s36, v1
	v_ashrrev_i32_e32 v15, 31, v14
	v_lshlrev_b64 v[1:2], 2, v[14:15]
	v_add_co_u32 v3, vcc_lo, s8, v1
	v_add_co_ci_u32_e64 v4, null, s9, v2, vcc_lo
	v_add_co_u32 v1, vcc_lo, s10, v1
	v_add_co_ci_u32_e64 v2, null, s11, v2, vcc_lo
	global_load_dword v3, v[3:4], off
	global_load_dword v1, v[1:2], off
	s_waitcnt vmcnt(1)
	v_subrev_nc_u32_e32 v18, s38, v3
	s_waitcnt vmcnt(0)
	v_sub_nc_u32_e32 v36, v1, v3
	s_and_saveexec_b32 s2, s0
	s_cbranch_execz .LBB53_18
; %bb.11:                               ;   in Loop: Header=BB53_10 Depth=2
	v_ashrrev_i32_e32 v19, 31, v18
	v_mov_b32_e32 v22, 0
	v_mov_b32_e32 v24, 0
	;; [unrolled: 1-line block ×4, first 2 shown]
	v_lshlrev_b64 v[1:2], 2, v[18:19]
	v_lshlrev_b64 v[3:4], 4, v[18:19]
	v_mov_b32_e32 v19, 0
	v_mov_b32_e32 v9, 0
	s_mov_b32 s43, 0
                                        ; implicit-def: $sgpr44
	v_add_co_u32 v1, vcc_lo, s12, v1
	v_add_co_ci_u32_e64 v2, null, s13, v2, vcc_lo
	v_add_co_u32 v3, vcc_lo, s14, v3
	v_add_co_ci_u32_e64 v4, null, s15, v4, vcc_lo
	s_branch .LBB53_14
.LBB53_12:                              ;   in Loop: Header=BB53_14 Depth=3
	s_or_b32 exec_lo, exec_lo, s1
	v_cmp_le_i32_e32 vcc_lo, v16, v17
	v_cmp_ge_i32_e64 s1, v16, v17
	v_add_co_ci_u32_e64 v9, null, 0, v9, vcc_lo
	v_add_co_ci_u32_e64 v19, null, 0, v19, s1
	s_andn2_b32 s1, s44, exec_lo
	v_cmp_ge_i32_e32 vcc_lo, v9, v31
	s_and_b32 s44, vcc_lo, exec_lo
	s_or_b32 s44, s1, s44
.LBB53_13:                              ;   in Loop: Header=BB53_14 Depth=3
	s_or_b32 exec_lo, exec_lo, s45
	s_and_b32 s1, exec_lo, s44
	s_or_b32 s43, s1, s43
	s_andn2_b32 exec_lo, exec_lo, s43
	s_cbranch_execz .LBB53_17
.LBB53_14:                              ;   Parent Loop BB53_6 Depth=1
                                        ;     Parent Loop BB53_10 Depth=2
                                        ; =>    This Inner Loop Header: Depth=3
	s_or_b32 s44, s44, exec_lo
	s_mov_b32 s45, exec_lo
	v_cmpx_lt_i32_e64 v19, v36
	s_cbranch_execz .LBB53_13
; %bb.15:                               ;   in Loop: Header=BB53_14 Depth=3
	v_mov_b32_e32 v20, v10
	v_lshlrev_b64 v[16:17], 2, v[9:10]
	s_mov_b32 s1, exec_lo
	v_lshlrev_b64 v[26:27], 2, v[19:20]
	v_add_co_u32 v16, vcc_lo, v32, v16
	v_add_co_ci_u32_e64 v17, null, v33, v17, vcc_lo
	v_add_co_u32 v26, vcc_lo, v1, v26
	v_add_co_ci_u32_e64 v27, null, v2, v27, vcc_lo
	global_load_dword v16, v[16:17], off
	global_load_dword v17, v[26:27], off
	s_waitcnt vmcnt(1)
	v_subrev_nc_u32_e32 v16, s37, v16
	s_waitcnt vmcnt(0)
	v_subrev_nc_u32_e32 v17, s38, v17
	v_cmpx_eq_u32_e64 v16, v17
	s_cbranch_execz .LBB53_12
; %bb.16:                               ;   in Loop: Header=BB53_14 Depth=3
	v_lshlrev_b64 v[26:27], 4, v[9:10]
	v_lshlrev_b64 v[20:21], 4, v[19:20]
	v_add_co_u32 v26, vcc_lo, v34, v26
	v_add_co_ci_u32_e64 v27, null, v35, v27, vcc_lo
	v_add_co_u32 v20, vcc_lo, v3, v20
	v_add_co_ci_u32_e64 v21, null, v4, v21, vcc_lo
	global_load_dwordx4 v[37:40], v[26:27], off
	global_load_dwordx4 v[41:44], v[20:21], off
	s_waitcnt vmcnt(0)
	v_fma_f64 v[20:21], v[37:38], v[41:42], v[22:23]
	v_fma_f64 v[24:25], v[39:40], v[41:42], v[24:25]
	v_fma_f64 v[22:23], -v[39:40], v[43:44], v[20:21]
	v_fma_f64 v[24:25], v[37:38], v[43:44], v[24:25]
	s_branch .LBB53_12
.LBB53_17:                              ;   in Loop: Header=BB53_10 Depth=2
	s_or_b32 exec_lo, exec_lo, s43
.LBB53_18:                              ;   in Loop: Header=BB53_10 Depth=2
	s_or_b32 exec_lo, exec_lo, s2
	v_lshlrev_b64 v[1:2], 4, v[11:12]
	v_cmp_le_i32_e64 s2, v5, v14
	s_mov_b32 s1, exec_lo
	v_add_co_u32 v1, vcc_lo, s30, v1
	v_add_co_ci_u32_e64 v2, null, s31, v2, vcc_lo
	global_load_dwordx4 v[1:4], v[1:2], off
	s_waitcnt vmcnt(0)
	v_add_f64 v[20:21], v[1:2], -v[22:23]
	v_add_f64 v[16:17], v[3:4], -v[24:25]
	v_cmpx_gt_i32_e64 v5, v14
	s_cbranch_execz .LBB53_20
; %bb.19:                               ;   in Loop: Header=BB53_10 Depth=2
	v_lshlrev_b64 v[26:27], 4, v[14:15]
	v_add_co_u32 v26, vcc_lo, s6, v26
	v_add_co_ci_u32_e64 v27, null, s7, v27, vcc_lo
	global_load_dwordx4 v[37:40], v[26:27], off
	s_waitcnt vmcnt(0)
	v_mul_f64 v[26:27], v[39:40], v[39:40]
	v_fma_f64 v[26:27], v[37:38], v[37:38], v[26:27]
	v_div_scale_f64 v[41:42], null, v[26:27], v[26:27], 1.0
	v_div_scale_f64 v[47:48], vcc_lo, 1.0, v[26:27], 1.0
	v_rcp_f64_e32 v[43:44], v[41:42]
	v_fma_f64 v[45:46], -v[41:42], v[43:44], 1.0
	v_fma_f64 v[43:44], v[43:44], v[45:46], v[43:44]
	v_fma_f64 v[45:46], -v[41:42], v[43:44], 1.0
	v_fma_f64 v[43:44], v[43:44], v[45:46], v[43:44]
	v_mul_f64 v[45:46], v[47:48], v[43:44]
	v_fma_f64 v[41:42], -v[41:42], v[45:46], v[47:48]
	v_div_fmas_f64 v[41:42], v[41:42], v[43:44], v[45:46]
	v_mul_f64 v[43:44], v[16:17], v[39:40]
	v_mul_f64 v[39:40], v[39:40], -v[20:21]
	v_div_fixup_f64 v[26:27], v[41:42], v[26:27], 1.0
	v_fma_f64 v[20:21], v[20:21], v[37:38], v[43:44]
	v_fma_f64 v[16:17], v[16:17], v[37:38], v[39:40]
	v_mul_f64 v[20:21], v[20:21], v[26:27]
	v_mul_f64 v[16:17], v[16:17], v[26:27]
.LBB53_20:                              ;   in Loop: Header=BB53_10 Depth=2
	s_or_b32 exec_lo, exec_lo, s1
	v_cmp_lt_i32_e64 s1, v19, v36
	s_mov_b32 s43, exec_lo
	v_cmpx_ge_i32_e64 v19, v36
	s_xor_b32 s43, exec_lo, s43
	s_cbranch_execnz .LBB53_33
; %bb.21:                               ;   in Loop: Header=BB53_10 Depth=2
	s_andn2_saveexec_b32 s43, s43
	s_cbranch_execnz .LBB53_49
.LBB53_22:                              ;   in Loop: Header=BB53_10 Depth=2
	s_or_b32 exec_lo, exec_lo, s43
	s_mov_b32 s43, exec_lo
	v_cmpx_eq_u32_e64 v5, v14
	s_cbranch_execz .LBB53_24
.LBB53_23:                              ;   in Loop: Header=BB53_10 Depth=2
	v_lshlrev_b64 v[26:27], 4, v[14:15]
	v_add_co_u32 v26, vcc_lo, s6, v26
	v_add_co_ci_u32_e64 v27, null, s7, v27, vcc_lo
	global_load_dwordx4 v[37:40], v[26:27], off
	s_waitcnt vmcnt(0)
	v_add_f64 v[22:23], v[22:23], v[37:38]
	v_add_f64 v[24:25], v[24:25], v[39:40]
.LBB53_24:                              ;   in Loop: Header=BB53_10 Depth=2
	s_or_b32 exec_lo, exec_lo, s43
	v_add_f64 v[22:23], v[1:2], -v[22:23]
	v_add_f64 v[24:25], v[3:4], -v[24:25]
	s_mov_b32 s43, exec_lo
	v_cmp_gt_f64_e32 vcc_lo, 0, v[22:23]
	v_xor_b32_e32 v1, 0x80000000, v23
	v_xor_b32_e32 v2, 0x80000000, v25
	v_mov_b32_e32 v3, v24
	v_cndmask_b32_e32 v23, v23, v1, vcc_lo
	v_cmp_gt_f64_e32 vcc_lo, 0, v[24:25]
	v_cndmask_b32_e32 v4, v25, v2, vcc_lo
                                        ; implicit-def: $vgpr1_vgpr2
	v_cmpx_ngt_f64_e32 v[22:23], v[3:4]
	s_xor_b32 s43, exec_lo, s43
	s_cbranch_execz .LBB53_28
; %bb.25:                               ;   in Loop: Header=BB53_10 Depth=2
	v_mov_b32_e32 v1, 0
	v_mov_b32_e32 v2, 0
	s_mov_b32 s44, exec_lo
	v_cmpx_neq_f64_e32 0, v[24:25]
	s_cbranch_execz .LBB53_27
; %bb.26:                               ;   in Loop: Header=BB53_10 Depth=2
	v_div_scale_f64 v[1:2], null, v[3:4], v[3:4], v[22:23]
	v_div_scale_f64 v[37:38], vcc_lo, v[22:23], v[3:4], v[22:23]
	v_rcp_f64_e32 v[24:25], v[1:2]
	v_fma_f64 v[26:27], -v[1:2], v[24:25], 1.0
	v_fma_f64 v[24:25], v[24:25], v[26:27], v[24:25]
	v_fma_f64 v[26:27], -v[1:2], v[24:25], 1.0
	v_fma_f64 v[24:25], v[24:25], v[26:27], v[24:25]
	v_mul_f64 v[26:27], v[37:38], v[24:25]
	v_fma_f64 v[1:2], -v[1:2], v[26:27], v[37:38]
	v_div_fmas_f64 v[1:2], v[1:2], v[24:25], v[26:27]
	v_div_fixup_f64 v[1:2], v[1:2], v[3:4], v[22:23]
	v_fma_f64 v[1:2], v[1:2], v[1:2], 1.0
	v_cmp_gt_f64_e32 vcc_lo, 0x10000000, v[1:2]
	v_cndmask_b32_e64 v12, 0, 0x100, vcc_lo
	v_ldexp_f64 v[1:2], v[1:2], v12
	v_cndmask_b32_e64 v12, 0, 0xffffff80, vcc_lo
	v_rsq_f64_e32 v[22:23], v[1:2]
	v_cmp_class_f64_e64 vcc_lo, v[1:2], 0x260
	v_mul_f64 v[24:25], v[1:2], v[22:23]
	v_mul_f64 v[22:23], v[22:23], 0.5
	v_fma_f64 v[26:27], -v[22:23], v[24:25], 0.5
	v_fma_f64 v[24:25], v[24:25], v[26:27], v[24:25]
	v_fma_f64 v[22:23], v[22:23], v[26:27], v[22:23]
	v_fma_f64 v[26:27], -v[24:25], v[24:25], v[1:2]
	v_fma_f64 v[24:25], v[26:27], v[22:23], v[24:25]
	v_fma_f64 v[26:27], -v[24:25], v[24:25], v[1:2]
	v_fma_f64 v[22:23], v[26:27], v[22:23], v[24:25]
	v_ldexp_f64 v[22:23], v[22:23], v12
	v_cndmask_b32_e32 v2, v23, v2, vcc_lo
	v_cndmask_b32_e32 v1, v22, v1, vcc_lo
	v_mul_f64 v[1:2], v[3:4], v[1:2]
.LBB53_27:                              ;   in Loop: Header=BB53_10 Depth=2
	s_or_b32 exec_lo, exec_lo, s44
                                        ; implicit-def: $vgpr22_vgpr23
                                        ; implicit-def: $vgpr3_vgpr4
.LBB53_28:                              ;   in Loop: Header=BB53_10 Depth=2
	s_andn2_saveexec_b32 s43, s43
	s_cbranch_execz .LBB53_30
; %bb.29:                               ;   in Loop: Header=BB53_10 Depth=2
	v_div_scale_f64 v[1:2], null, v[22:23], v[22:23], v[3:4]
	v_div_scale_f64 v[37:38], vcc_lo, v[3:4], v[22:23], v[3:4]
	v_rcp_f64_e32 v[24:25], v[1:2]
	v_fma_f64 v[26:27], -v[1:2], v[24:25], 1.0
	v_fma_f64 v[24:25], v[24:25], v[26:27], v[24:25]
	v_fma_f64 v[26:27], -v[1:2], v[24:25], 1.0
	v_fma_f64 v[24:25], v[24:25], v[26:27], v[24:25]
	v_mul_f64 v[26:27], v[37:38], v[24:25]
	v_fma_f64 v[1:2], -v[1:2], v[26:27], v[37:38]
	v_div_fmas_f64 v[1:2], v[1:2], v[24:25], v[26:27]
	v_div_fixup_f64 v[1:2], v[1:2], v[22:23], v[3:4]
	v_fma_f64 v[1:2], v[1:2], v[1:2], 1.0
	v_cmp_gt_f64_e32 vcc_lo, 0x10000000, v[1:2]
	v_cndmask_b32_e64 v3, 0, 0x100, vcc_lo
	v_cndmask_b32_e64 v12, 0, 0xffffff80, vcc_lo
	v_ldexp_f64 v[1:2], v[1:2], v3
	v_rsq_f64_e32 v[3:4], v[1:2]
	v_cmp_class_f64_e64 vcc_lo, v[1:2], 0x260
	v_mul_f64 v[24:25], v[1:2], v[3:4]
	v_mul_f64 v[3:4], v[3:4], 0.5
	v_fma_f64 v[26:27], -v[3:4], v[24:25], 0.5
	v_fma_f64 v[24:25], v[24:25], v[26:27], v[24:25]
	v_fma_f64 v[3:4], v[3:4], v[26:27], v[3:4]
	v_fma_f64 v[26:27], -v[24:25], v[24:25], v[1:2]
	v_fma_f64 v[24:25], v[26:27], v[3:4], v[24:25]
	v_fma_f64 v[26:27], -v[24:25], v[24:25], v[1:2]
	v_fma_f64 v[3:4], v[26:27], v[3:4], v[24:25]
	v_ldexp_f64 v[3:4], v[3:4], v12
	v_cndmask_b32_e32 v2, v4, v2, vcc_lo
	v_cndmask_b32_e32 v1, v3, v1, vcc_lo
	v_mul_f64 v[1:2], v[22:23], v[1:2]
.LBB53_30:                              ;   in Loop: Header=BB53_10 Depth=2
	s_or_b32 exec_lo, exec_lo, s43
	v_cmp_gt_f64_e32 vcc_lo, 0, v[20:21]
	v_xor_b32_e32 v4, 0x80000000, v21
	v_xor_b32_e32 v12, 0x80000000, v17
	v_mov_b32_e32 v3, v20
	v_mov_b32_e32 v22, v16
	s_mov_b32 s43, exec_lo
                                        ; implicit-def: $vgpr24_vgpr25
	v_cndmask_b32_e32 v4, v21, v4, vcc_lo
	v_cmp_gt_f64_e32 vcc_lo, 0, v[16:17]
	v_cndmask_b32_e32 v23, v17, v12, vcc_lo
	v_cmpx_ngt_f64_e32 v[3:4], v[22:23]
	s_xor_b32 s43, exec_lo, s43
	s_cbranch_execnz .LBB53_38
; %bb.31:                               ;   in Loop: Header=BB53_10 Depth=2
	s_andn2_saveexec_b32 s43, s43
	s_cbranch_execnz .LBB53_41
.LBB53_32:                              ;   in Loop: Header=BB53_10 Depth=2
	s_or_b32 exec_lo, exec_lo, s43
	v_cmp_class_f64_e64 s44, v[24:25], 0x1f8
	s_and_saveexec_b32 s43, s44
	s_cbranch_execz .LBB53_9
	s_branch .LBB53_42
.LBB53_33:                              ;   in Loop: Header=BB53_10 Depth=2
	s_mov_b32 s44, exec_lo
	v_cmpx_lt_i32_e64 v9, v31
	s_cbranch_execz .LBB53_48
; %bb.34:                               ;   in Loop: Header=BB53_10 Depth=2
	v_mov_b32_e32 v12, v9
	s_mov_b32 s46, 0
                                        ; implicit-def: $sgpr45
                                        ; implicit-def: $sgpr48
                                        ; implicit-def: $sgpr47
	s_inst_prefetch 0x1
	s_branch .LBB53_36
	.p2align	6
.LBB53_35:                              ;   in Loop: Header=BB53_36 Depth=3
	s_or_b32 exec_lo, exec_lo, s49
	s_and_b32 s49, exec_lo, s48
	s_or_b32 s46, s49, s46
	s_andn2_b32 s45, s45, exec_lo
	s_and_b32 s49, s47, exec_lo
	s_or_b32 s45, s45, s49
	s_andn2_b32 exec_lo, exec_lo, s46
	s_cbranch_execz .LBB53_45
.LBB53_36:                              ;   Parent Loop BB53_6 Depth=1
                                        ;     Parent Loop BB53_10 Depth=2
                                        ; =>    This Inner Loop Header: Depth=3
	v_add_nc_u32_e32 v26, v13, v12
	s_or_b32 s47, s47, exec_lo
	s_or_b32 s48, s48, exec_lo
	s_mov_b32 s49, exec_lo
	v_ashrrev_i32_e32 v27, 31, v26
	v_lshlrev_b64 v[37:38], 2, v[26:27]
	v_add_co_u32 v37, vcc_lo, s20, v37
	v_add_co_ci_u32_e64 v38, null, s21, v38, vcc_lo
	global_load_dword v37, v[37:38], off
	s_waitcnt vmcnt(0)
	v_subrev_nc_u32_e32 v37, s37, v37
	v_cmpx_ne_u32_e64 v37, v14
	s_cbranch_execz .LBB53_35
; %bb.37:                               ;   in Loop: Header=BB53_36 Depth=3
	v_add_nc_u32_e32 v12, 1, v12
	s_andn2_b32 s48, s48, exec_lo
	s_andn2_b32 s47, s47, exec_lo
	v_cmp_ge_i32_e32 vcc_lo, v12, v31
	s_and_b32 s50, vcc_lo, exec_lo
	s_or_b32 s48, s48, s50
	s_branch .LBB53_35
.LBB53_38:                              ;   in Loop: Header=BB53_10 Depth=2
	v_mov_b32_e32 v24, 0
	v_mov_b32_e32 v25, 0
	s_mov_b32 s44, exec_lo
	v_cmpx_neq_f64_e32 0, v[16:17]
	s_cbranch_execz .LBB53_40
; %bb.39:                               ;   in Loop: Header=BB53_10 Depth=2
	v_div_scale_f64 v[24:25], null, v[22:23], v[22:23], v[3:4]
	v_div_scale_f64 v[39:40], vcc_lo, v[3:4], v[22:23], v[3:4]
	v_rcp_f64_e32 v[26:27], v[24:25]
	v_fma_f64 v[37:38], -v[24:25], v[26:27], 1.0
	v_fma_f64 v[26:27], v[26:27], v[37:38], v[26:27]
	v_fma_f64 v[37:38], -v[24:25], v[26:27], 1.0
	v_fma_f64 v[26:27], v[26:27], v[37:38], v[26:27]
	v_mul_f64 v[37:38], v[39:40], v[26:27]
	v_fma_f64 v[24:25], -v[24:25], v[37:38], v[39:40]
	v_div_fmas_f64 v[24:25], v[24:25], v[26:27], v[37:38]
	v_div_fixup_f64 v[3:4], v[24:25], v[22:23], v[3:4]
	v_fma_f64 v[3:4], v[3:4], v[3:4], 1.0
	v_cmp_gt_f64_e32 vcc_lo, 0x10000000, v[3:4]
	v_cndmask_b32_e64 v12, 0, 0x100, vcc_lo
	v_ldexp_f64 v[3:4], v[3:4], v12
	v_cndmask_b32_e64 v12, 0, 0xffffff80, vcc_lo
	v_rsq_f64_e32 v[24:25], v[3:4]
	v_cmp_class_f64_e64 vcc_lo, v[3:4], 0x260
	v_mul_f64 v[26:27], v[3:4], v[24:25]
	v_mul_f64 v[24:25], v[24:25], 0.5
	v_fma_f64 v[37:38], -v[24:25], v[26:27], 0.5
	v_fma_f64 v[26:27], v[26:27], v[37:38], v[26:27]
	v_fma_f64 v[24:25], v[24:25], v[37:38], v[24:25]
	v_fma_f64 v[37:38], -v[26:27], v[26:27], v[3:4]
	v_fma_f64 v[26:27], v[37:38], v[24:25], v[26:27]
	v_fma_f64 v[37:38], -v[26:27], v[26:27], v[3:4]
	v_fma_f64 v[24:25], v[37:38], v[24:25], v[26:27]
	v_ldexp_f64 v[24:25], v[24:25], v12
	v_cndmask_b32_e32 v4, v25, v4, vcc_lo
	v_cndmask_b32_e32 v3, v24, v3, vcc_lo
	v_mul_f64 v[24:25], v[22:23], v[3:4]
.LBB53_40:                              ;   in Loop: Header=BB53_10 Depth=2
	s_or_b32 exec_lo, exec_lo, s44
                                        ; implicit-def: $vgpr3_vgpr4
                                        ; implicit-def: $vgpr22_vgpr23
	s_andn2_saveexec_b32 s43, s43
	s_cbranch_execz .LBB53_32
.LBB53_41:                              ;   in Loop: Header=BB53_10 Depth=2
	v_div_scale_f64 v[24:25], null, v[3:4], v[3:4], v[22:23]
	v_div_scale_f64 v[39:40], vcc_lo, v[22:23], v[3:4], v[22:23]
	v_rcp_f64_e32 v[26:27], v[24:25]
	v_fma_f64 v[37:38], -v[24:25], v[26:27], 1.0
	v_fma_f64 v[26:27], v[26:27], v[37:38], v[26:27]
	v_fma_f64 v[37:38], -v[24:25], v[26:27], 1.0
	v_fma_f64 v[26:27], v[26:27], v[37:38], v[26:27]
	v_mul_f64 v[37:38], v[39:40], v[26:27]
	v_fma_f64 v[24:25], -v[24:25], v[37:38], v[39:40]
	v_div_fmas_f64 v[24:25], v[24:25], v[26:27], v[37:38]
	v_div_fixup_f64 v[22:23], v[24:25], v[3:4], v[22:23]
	v_fma_f64 v[22:23], v[22:23], v[22:23], 1.0
	v_cmp_gt_f64_e32 vcc_lo, 0x10000000, v[22:23]
	v_cndmask_b32_e64 v12, 0, 0x100, vcc_lo
	v_ldexp_f64 v[22:23], v[22:23], v12
	v_cndmask_b32_e64 v12, 0, 0xffffff80, vcc_lo
	v_rsq_f64_e32 v[24:25], v[22:23]
	v_cmp_class_f64_e64 vcc_lo, v[22:23], 0x260
	v_mul_f64 v[26:27], v[22:23], v[24:25]
	v_mul_f64 v[24:25], v[24:25], 0.5
	v_fma_f64 v[37:38], -v[24:25], v[26:27], 0.5
	v_fma_f64 v[26:27], v[26:27], v[37:38], v[26:27]
	v_fma_f64 v[24:25], v[24:25], v[37:38], v[24:25]
	v_fma_f64 v[37:38], -v[26:27], v[26:27], v[22:23]
	v_fma_f64 v[26:27], v[37:38], v[24:25], v[26:27]
	v_fma_f64 v[37:38], -v[26:27], v[26:27], v[22:23]
	v_fma_f64 v[24:25], v[37:38], v[24:25], v[26:27]
	v_ldexp_f64 v[24:25], v[24:25], v12
	v_cndmask_b32_e32 v23, v25, v23, vcc_lo
	v_cndmask_b32_e32 v22, v24, v22, vcc_lo
	v_mul_f64 v[24:25], v[3:4], v[22:23]
	s_or_b32 exec_lo, exec_lo, s43
	v_cmp_class_f64_e64 s44, v[24:25], 0x1f8
	s_and_saveexec_b32 s43, s44
	s_cbranch_execz .LBB53_9
.LBB53_42:                              ;   in Loop: Header=BB53_10 Depth=2
	s_mov_b32 s44, 0
                                        ; implicit-def: $vgpr3_vgpr4
	s_and_saveexec_b32 s45, s2
	s_xor_b32 s2, exec_lo, s45
	s_cbranch_execnz .LBB53_56
; %bb.43:                               ;   in Loop: Header=BB53_10 Depth=2
	s_andn2_saveexec_b32 s1, s2
	s_cbranch_execnz .LBB53_69
.LBB53_44:                              ;   in Loop: Header=BB53_10 Depth=2
	s_or_b32 exec_lo, exec_lo, s1
	s_and_b32 exec_lo, exec_lo, s44
	s_cbranch_execz .LBB53_9
	s_branch .LBB53_78
.LBB53_45:                              ;   in Loop: Header=BB53_10 Depth=2
	s_inst_prefetch 0x2
	s_or_b32 exec_lo, exec_lo, s46
	s_and_saveexec_b32 s46, s45
	s_xor_b32 s45, exec_lo, s46
	s_cbranch_execz .LBB53_47
; %bb.46:                               ;   in Loop: Header=BB53_10 Depth=2
	v_lshlrev_b64 v[37:38], 4, v[14:15]
	v_lshlrev_b64 v[26:27], 4, v[26:27]
	v_add_co_u32 v37, vcc_lo, s6, v37
	v_add_co_ci_u32_e64 v38, null, s7, v38, vcc_lo
	v_add_co_u32 v26, vcc_lo, s22, v26
	v_add_co_ci_u32_e64 v27, null, s23, v27, vcc_lo
	global_load_dwordx4 v[37:40], v[37:38], off
	global_load_dwordx4 v[41:44], v[26:27], off
	s_waitcnt vmcnt(0)
	v_mul_f64 v[26:27], v[39:40], -v[43:44]
	v_mul_f64 v[39:40], v[39:40], v[41:42]
	v_fma_f64 v[26:27], v[41:42], v[37:38], v[26:27]
	v_fma_f64 v[37:38], v[43:44], v[37:38], v[39:40]
	v_add_f64 v[22:23], v[22:23], v[26:27]
	v_add_f64 v[24:25], v[24:25], v[37:38]
.LBB53_47:                              ;   in Loop: Header=BB53_10 Depth=2
	s_or_b32 exec_lo, exec_lo, s45
.LBB53_48:                              ;   in Loop: Header=BB53_10 Depth=2
	s_or_b32 exec_lo, exec_lo, s44
	s_andn2_saveexec_b32 s43, s43
	s_cbranch_execz .LBB53_22
.LBB53_49:                              ;   in Loop: Header=BB53_10 Depth=2
	v_mov_b32_e32 v12, v19
	s_mov_b32 s45, 0
                                        ; implicit-def: $sgpr44
                                        ; implicit-def: $sgpr47
                                        ; implicit-def: $sgpr46
	s_inst_prefetch 0x1
	s_branch .LBB53_51
	.p2align	6
.LBB53_50:                              ;   in Loop: Header=BB53_51 Depth=3
	s_or_b32 exec_lo, exec_lo, s48
	s_and_b32 s48, exec_lo, s47
	s_or_b32 s45, s48, s45
	s_andn2_b32 s44, s44, exec_lo
	s_and_b32 s48, s46, exec_lo
	s_or_b32 s44, s44, s48
	s_andn2_b32 exec_lo, exec_lo, s45
	s_cbranch_execz .LBB53_53
.LBB53_51:                              ;   Parent Loop BB53_6 Depth=1
                                        ;     Parent Loop BB53_10 Depth=2
                                        ; =>    This Inner Loop Header: Depth=3
	v_add_nc_u32_e32 v26, v18, v12
	s_or_b32 s46, s46, exec_lo
	s_or_b32 s47, s47, exec_lo
	s_mov_b32 s48, exec_lo
	v_ashrrev_i32_e32 v27, 31, v26
	v_lshlrev_b64 v[37:38], 2, v[26:27]
	v_add_co_u32 v37, vcc_lo, s12, v37
	v_add_co_ci_u32_e64 v38, null, s13, v38, vcc_lo
	global_load_dword v37, v[37:38], off
	s_waitcnt vmcnt(0)
	v_subrev_nc_u32_e32 v37, s38, v37
	v_cmpx_ne_u32_e64 v37, v5
	s_cbranch_execz .LBB53_50
; %bb.52:                               ;   in Loop: Header=BB53_51 Depth=3
	v_add_nc_u32_e32 v12, 1, v12
	s_andn2_b32 s47, s47, exec_lo
	s_andn2_b32 s46, s46, exec_lo
	v_cmp_ge_i32_e32 vcc_lo, v12, v36
	s_and_b32 s49, vcc_lo, exec_lo
	s_or_b32 s47, s47, s49
	s_branch .LBB53_50
.LBB53_53:                              ;   in Loop: Header=BB53_10 Depth=2
	s_inst_prefetch 0x2
	s_or_b32 exec_lo, exec_lo, s45
	s_and_saveexec_b32 s45, s44
	s_xor_b32 s44, exec_lo, s45
	s_cbranch_execz .LBB53_55
; %bb.54:                               ;   in Loop: Header=BB53_10 Depth=2
	v_lshlrev_b64 v[26:27], 4, v[26:27]
	v_add_co_u32 v26, vcc_lo, s14, v26
	v_add_co_ci_u32_e64 v27, null, s15, v27, vcc_lo
	global_load_dwordx4 v[37:40], v[26:27], off
	s_waitcnt vmcnt(0)
	v_add_f64 v[22:23], v[22:23], v[37:38]
	v_add_f64 v[24:25], v[24:25], v[39:40]
.LBB53_55:                              ;   in Loop: Header=BB53_10 Depth=2
	s_or_b32 exec_lo, exec_lo, s44
	s_or_b32 exec_lo, exec_lo, s43
	s_mov_b32 s43, exec_lo
	v_cmpx_eq_u32_e64 v5, v14
	s_cbranch_execnz .LBB53_23
	s_branch .LBB53_24
.LBB53_56:                              ;   in Loop: Header=BB53_10 Depth=2
	s_mov_b32 s45, exec_lo
                                        ; implicit-def: $vgpr3_vgpr4
	v_cmpx_ge_i32_e64 v5, v14
	s_xor_b32 s45, exec_lo, s45
	s_cbranch_execz .LBB53_58
; %bb.57:                               ;   in Loop: Header=BB53_10 Depth=2
	v_lshlrev_b64 v[3:4], 4, v[14:15]
	s_mov_b32 s44, exec_lo
                                        ; implicit-def: $vgpr19
                                        ; implicit-def: $vgpr18
                                        ; implicit-def: $vgpr36
	v_add_co_u32 v3, vcc_lo, s6, v3
	v_add_co_ci_u32_e64 v4, null, s7, v4, vcc_lo
	global_store_dwordx2 v[3:4], v[20:21], off
                                        ; implicit-def: $vgpr20_vgpr21
.LBB53_58:                              ;   in Loop: Header=BB53_10 Depth=2
	s_andn2_saveexec_b32 s45, s45
	s_cbranch_execz .LBB53_68
; %bb.59:                               ;   in Loop: Header=BB53_10 Depth=2
	s_mov_b32 s47, s44
                                        ; implicit-def: $vgpr3_vgpr4
	s_and_saveexec_b32 s46, s1
	s_cbranch_execz .LBB53_67
; %bb.60:                               ;   in Loop: Header=BB53_10 Depth=2
	s_mov_b32 s47, 0
                                        ; implicit-def: $sgpr1
                                        ; implicit-def: $sgpr49
                                        ; implicit-def: $sgpr48
	s_inst_prefetch 0x1
	s_branch .LBB53_62
	.p2align	6
.LBB53_61:                              ;   in Loop: Header=BB53_62 Depth=3
	s_or_b32 exec_lo, exec_lo, s50
	s_and_b32 s50, exec_lo, s49
	s_or_b32 s47, s50, s47
	s_andn2_b32 s1, s1, exec_lo
	s_and_b32 s50, s48, exec_lo
	s_or_b32 s1, s1, s50
	s_andn2_b32 exec_lo, exec_lo, s47
	s_cbranch_execz .LBB53_64
.LBB53_62:                              ;   Parent Loop BB53_6 Depth=1
                                        ;     Parent Loop BB53_10 Depth=2
                                        ; =>    This Inner Loop Header: Depth=3
	v_add_nc_u32_e32 v14, v18, v19
	s_or_b32 s48, s48, exec_lo
	s_or_b32 s49, s49, exec_lo
	s_mov_b32 s50, exec_lo
	v_ashrrev_i32_e32 v15, 31, v14
	v_lshlrev_b64 v[3:4], 2, v[14:15]
	v_add_co_u32 v3, vcc_lo, s12, v3
	v_add_co_ci_u32_e64 v4, null, s13, v4, vcc_lo
	global_load_dword v3, v[3:4], off
	s_waitcnt vmcnt(0)
	v_subrev_nc_u32_e32 v3, s38, v3
	v_cmpx_ne_u32_e64 v3, v5
	s_cbranch_execz .LBB53_61
; %bb.63:                               ;   in Loop: Header=BB53_62 Depth=3
	v_add_nc_u32_e32 v19, 1, v19
	s_andn2_b32 s49, s49, exec_lo
	s_andn2_b32 s48, s48, exec_lo
	v_cmp_ge_i32_e32 vcc_lo, v19, v36
	s_and_b32 s51, vcc_lo, exec_lo
	s_or_b32 s49, s49, s51
	s_branch .LBB53_61
.LBB53_64:                              ;   in Loop: Header=BB53_10 Depth=2
	s_inst_prefetch 0x2
	s_or_b32 exec_lo, exec_lo, s47
	s_mov_b32 s47, s44
                                        ; implicit-def: $vgpr3_vgpr4
	s_and_saveexec_b32 s48, s1
	s_xor_b32 s1, exec_lo, s48
	s_cbranch_execz .LBB53_66
; %bb.65:                               ;   in Loop: Header=BB53_10 Depth=2
	v_lshlrev_b64 v[3:4], 4, v[14:15]
	s_or_b32 s47, s44, exec_lo
	v_add_co_u32 v3, vcc_lo, s14, v3
	v_add_co_ci_u32_e64 v4, null, s15, v4, vcc_lo
	global_store_dwordx2 v[3:4], v[20:21], off
.LBB53_66:                              ;   in Loop: Header=BB53_10 Depth=2
	s_or_b32 exec_lo, exec_lo, s1
	s_andn2_b32 s1, s44, exec_lo
	s_and_b32 s47, s47, exec_lo
	s_or_b32 s47, s1, s47
.LBB53_67:                              ;   in Loop: Header=BB53_10 Depth=2
	s_or_b32 exec_lo, exec_lo, s46
	s_andn2_b32 s1, s44, exec_lo
	s_and_b32 s44, s47, exec_lo
	s_or_b32 s44, s1, s44
.LBB53_68:                              ;   in Loop: Header=BB53_10 Depth=2
	s_or_b32 exec_lo, exec_lo, s45
	s_and_b32 s44, s44, exec_lo
                                        ; implicit-def: $vgpr20_vgpr21
                                        ; implicit-def: $vgpr14_vgpr15
	s_andn2_saveexec_b32 s1, s2
	s_cbranch_execz .LBB53_44
.LBB53_69:                              ;   in Loop: Header=BB53_10 Depth=2
	s_mov_b32 s45, s44
	s_mov_b32 s2, exec_lo
                                        ; implicit-def: $vgpr3_vgpr4
	v_cmpx_lt_i32_e64 v9, v31
	s_cbranch_execz .LBB53_77
; %bb.70:                               ;   in Loop: Header=BB53_10 Depth=2
	s_mov_b32 s46, 0
                                        ; implicit-def: $sgpr45
                                        ; implicit-def: $sgpr48
                                        ; implicit-def: $sgpr47
	s_inst_prefetch 0x1
	s_branch .LBB53_72
	.p2align	6
.LBB53_71:                              ;   in Loop: Header=BB53_72 Depth=3
	s_or_b32 exec_lo, exec_lo, s49
	s_and_b32 s49, exec_lo, s48
	s_or_b32 s46, s49, s46
	s_andn2_b32 s45, s45, exec_lo
	s_and_b32 s49, s47, exec_lo
	s_or_b32 s45, s45, s49
	s_andn2_b32 exec_lo, exec_lo, s46
	s_cbranch_execz .LBB53_74
.LBB53_72:                              ;   Parent Loop BB53_6 Depth=1
                                        ;     Parent Loop BB53_10 Depth=2
                                        ; =>    This Inner Loop Header: Depth=3
	v_add_nc_u32_e32 v18, v13, v9
	s_or_b32 s47, s47, exec_lo
	s_or_b32 s48, s48, exec_lo
	s_mov_b32 s49, exec_lo
	v_ashrrev_i32_e32 v19, 31, v18
	v_lshlrev_b64 v[3:4], 2, v[18:19]
	v_add_co_u32 v3, vcc_lo, s20, v3
	v_add_co_ci_u32_e64 v4, null, s21, v4, vcc_lo
	global_load_dword v3, v[3:4], off
	s_waitcnt vmcnt(0)
	v_subrev_nc_u32_e32 v3, s37, v3
	v_cmpx_ne_u32_e64 v3, v14
	s_cbranch_execz .LBB53_71
; %bb.73:                               ;   in Loop: Header=BB53_72 Depth=3
	v_add_nc_u32_e32 v9, 1, v9
	s_andn2_b32 s48, s48, exec_lo
	s_andn2_b32 s47, s47, exec_lo
	v_cmp_ge_i32_e32 vcc_lo, v9, v31
	s_and_b32 s50, vcc_lo, exec_lo
	s_or_b32 s48, s48, s50
	s_branch .LBB53_71
.LBB53_74:                              ;   in Loop: Header=BB53_10 Depth=2
	s_inst_prefetch 0x2
	s_or_b32 exec_lo, exec_lo, s46
	s_mov_b32 s46, s44
                                        ; implicit-def: $vgpr3_vgpr4
	s_and_saveexec_b32 s47, s45
	s_xor_b32 s45, exec_lo, s47
	s_cbranch_execz .LBB53_76
; %bb.75:                               ;   in Loop: Header=BB53_10 Depth=2
	v_lshlrev_b64 v[3:4], 4, v[18:19]
	s_or_b32 s46, s44, exec_lo
	v_add_co_u32 v3, vcc_lo, s22, v3
	v_add_co_ci_u32_e64 v4, null, s23, v4, vcc_lo
	global_store_dwordx2 v[3:4], v[20:21], off
.LBB53_76:                              ;   in Loop: Header=BB53_10 Depth=2
	s_or_b32 exec_lo, exec_lo, s45
	s_andn2_b32 s45, s44, exec_lo
	s_and_b32 s46, s46, exec_lo
	s_or_b32 s45, s45, s46
.LBB53_77:                              ;   in Loop: Header=BB53_10 Depth=2
	s_or_b32 exec_lo, exec_lo, s2
	s_andn2_b32 s2, s44, exec_lo
	s_and_b32 s44, s45, exec_lo
	s_or_b32 s44, s2, s44
	s_or_b32 exec_lo, exec_lo, s1
	s_and_b32 exec_lo, exec_lo, s44
	s_cbranch_execz .LBB53_9
.LBB53_78:                              ;   in Loop: Header=BB53_10 Depth=2
	global_store_dwordx2 v[3:4], v[16:17], off offset:8
	s_branch .LBB53_9
.LBB53_79:
	s_or_b32 exec_lo, exec_lo, s39
.LBB53_80:
	s_or_b32 exec_lo, exec_lo, s34
.LBB53_81:
	s_or_b32 exec_lo, exec_lo, s3
	v_mbcnt_lo_u32_b32 v5, -1, 0
	v_xor_b32_e32 v1, 8, v5
	v_xor_b32_e32 v3, 4, v5
	;; [unrolled: 1-line block ×3, first 2 shown]
	v_cmp_gt_i32_e32 vcc_lo, 32, v1
	v_cmp_gt_i32_e64 s0, 32, v3
	v_cndmask_b32_e32 v1, v5, v1, vcc_lo
	v_cndmask_b32_e64 v3, v5, v3, s0
	v_cmp_gt_i32_e64 s0, 32, v6
	v_lshlrev_b32_e32 v2, 2, v1
	v_lshlrev_b32_e32 v3, 2, v3
	v_cndmask_b32_e64 v6, v5, v6, s0
	ds_bpermute_b32 v1, v2, v7
	ds_bpermute_b32 v2, v2, v8
	v_lshlrev_b32_e32 v6, 2, v6
	s_waitcnt lgkmcnt(0)
	v_cmp_lt_f64_e32 vcc_lo, v[7:8], v[1:2]
	v_cndmask_b32_e32 v2, v8, v2, vcc_lo
	v_cndmask_b32_e32 v1, v7, v1, vcc_lo
	ds_bpermute_b32 v4, v3, v2
	ds_bpermute_b32 v3, v3, v1
	s_waitcnt lgkmcnt(0)
	v_cmp_lt_f64_e32 vcc_lo, v[1:2], v[3:4]
	v_cndmask_b32_e32 v2, v2, v4, vcc_lo
	v_cndmask_b32_e32 v1, v1, v3, vcc_lo
	ds_bpermute_b32 v4, v6, v2
	ds_bpermute_b32 v3, v6, v1
	v_xor_b32_e32 v6, 1, v5
	v_cmp_gt_i32_e64 s0, 32, v6
	v_cndmask_b32_e64 v5, v5, v6, s0
	s_mov_b32 s0, exec_lo
	v_lshlrev_b32_e32 v5, 2, v5
	s_waitcnt lgkmcnt(0)
	v_cmp_lt_f64_e32 vcc_lo, v[1:2], v[3:4]
	v_cndmask_b32_e32 v2, v2, v4, vcc_lo
	v_cndmask_b32_e32 v1, v1, v3, vcc_lo
	ds_bpermute_b32 v3, v5, v1
	ds_bpermute_b32 v5, v5, v2
	v_cmpx_eq_u32_e32 15, v29
	s_cbranch_execz .LBB53_83
; %bb.82:
	s_waitcnt lgkmcnt(0)
	v_mov_b32_e32 v4, v5
	v_cmp_lt_f64_e32 vcc_lo, v[1:2], v[3:4]
	v_lshlrev_b32_e32 v4, 3, v28
	v_cndmask_b32_e32 v2, v2, v5, vcc_lo
	v_cndmask_b32_e32 v1, v1, v3, vcc_lo
	ds_write_b64 v4, v[1:2]
.LBB53_83:
	s_or_b32 exec_lo, exec_lo, s0
	v_lshlrev_b32_e32 v1, 3, v0
	s_mov_b32 s0, exec_lo
	s_waitcnt lgkmcnt(0)
	s_waitcnt_vscnt null, 0x0
	s_barrier
	buffer_gl0_inv
	v_cmpx_gt_u32_e32 32, v0
	s_cbranch_execz .LBB53_85
; %bb.84:
	ds_read2_b64 v[2:5], v1 offset1:32
	s_waitcnt lgkmcnt(0)
	v_cmp_lt_f64_e32 vcc_lo, v[2:3], v[4:5]
	v_cndmask_b32_e32 v3, v3, v5, vcc_lo
	v_cndmask_b32_e32 v2, v2, v4, vcc_lo
	ds_write_b64 v1, v[2:3]
.LBB53_85:
	s_or_b32 exec_lo, exec_lo, s0
	s_mov_b32 s0, exec_lo
	s_waitcnt lgkmcnt(0)
	s_barrier
	buffer_gl0_inv
	v_cmpx_gt_u32_e32 16, v0
	s_cbranch_execz .LBB53_87
; %bb.86:
	ds_read2_b64 v[2:5], v1 offset1:16
	s_waitcnt lgkmcnt(0)
	v_cmp_lt_f64_e32 vcc_lo, v[2:3], v[4:5]
	v_cndmask_b32_e32 v3, v3, v5, vcc_lo
	v_cndmask_b32_e32 v2, v2, v4, vcc_lo
	ds_write_b64 v1, v[2:3]
.LBB53_87:
	s_or_b32 exec_lo, exec_lo, s0
	s_mov_b32 s0, exec_lo
	s_waitcnt lgkmcnt(0)
	;; [unrolled: 15-line block ×4, first 2 shown]
	s_barrier
	buffer_gl0_inv
	v_cmpx_gt_u32_e32 2, v0
	s_cbranch_execz .LBB53_93
; %bb.92:
	ds_read2_b64 v[2:5], v1 offset1:2
	s_waitcnt lgkmcnt(0)
	v_cmp_lt_f64_e32 vcc_lo, v[2:3], v[4:5]
	v_cndmask_b32_e32 v3, v3, v5, vcc_lo
	v_cndmask_b32_e32 v2, v2, v4, vcc_lo
	ds_write_b64 v1, v[2:3]
.LBB53_93:
	s_or_b32 exec_lo, exec_lo, s0
	v_cmp_eq_u32_e32 vcc_lo, 0, v0
	s_waitcnt lgkmcnt(0)
	s_barrier
	buffer_gl0_inv
	s_and_saveexec_b32 s1, vcc_lo
	s_cbranch_execz .LBB53_95
; %bb.94:
	v_mov_b32_e32 v4, 0
	ds_read_b128 v[0:3], v4
	s_waitcnt lgkmcnt(0)
	v_cmp_lt_f64_e64 s0, v[0:1], v[2:3]
	v_cndmask_b32_e64 v1, v1, v3, s0
	v_cndmask_b32_e64 v0, v0, v2, s0
	ds_write_b64 v4, v[0:1]
.LBB53_95:
	s_or_b32 exec_lo, exec_lo, s1
	s_waitcnt lgkmcnt(0)
	s_barrier
	buffer_gl0_inv
	s_and_saveexec_b32 s0, vcc_lo
	s_cbranch_execz .LBB53_99
; %bb.96:
	v_mbcnt_lo_u32_b32 v0, exec_lo, 0
	s_mov_b32 s6, 0
	v_cmp_eq_u32_e32 vcc_lo, 0, v0
	s_and_b32 exec_lo, exec_lo, vcc_lo
	s_cbranch_execz .LBB53_99
; %bb.97:
	s_load_dwordx4 s[0:3], s[4:5], 0x88
	v_mov_b32_e32 v6, 0
	s_waitcnt lgkmcnt(0)
	s_clause 0x1
	global_load_dwordx2 v[0:1], v6, s[2:3]
	global_load_dwordx2 v[2:3], v6, s[0:1]
	ds_read_b64 v[4:5], v6
	s_waitcnt vmcnt(1) lgkmcnt(0)
	v_div_scale_f64 v[7:8], null, v[0:1], v[0:1], v[4:5]
	v_rcp_f64_e32 v[9:10], v[7:8]
	v_fma_f64 v[11:12], -v[7:8], v[9:10], 1.0
	v_fma_f64 v[9:10], v[9:10], v[11:12], v[9:10]
	v_fma_f64 v[11:12], -v[7:8], v[9:10], 1.0
	v_fma_f64 v[9:10], v[9:10], v[11:12], v[9:10]
	v_div_scale_f64 v[11:12], vcc_lo, v[4:5], v[0:1], v[4:5]
	v_mul_f64 v[13:14], v[11:12], v[9:10]
	v_fma_f64 v[7:8], -v[7:8], v[13:14], v[11:12]
	v_div_fmas_f64 v[7:8], v[7:8], v[9:10], v[13:14]
	v_div_fixup_f64 v[0:1], v[7:8], v[0:1], v[4:5]
	v_max_f64 v[4:5], v[0:1], v[0:1]
.LBB53_98:                              ; =>This Inner Loop Header: Depth=1
	s_waitcnt vmcnt(0)
	v_max_f64 v[0:1], v[2:3], v[2:3]
	v_max_f64 v[0:1], v[0:1], v[4:5]
	global_atomic_cmpswap_x2 v[0:1], v6, v[0:3], s[0:1] glc
	s_waitcnt vmcnt(0)
	v_cmp_eq_u64_e32 vcc_lo, v[0:1], v[2:3]
	v_mov_b32_e32 v3, v1
	v_mov_b32_e32 v2, v0
	s_or_b32 s6, vcc_lo, s6
	s_andn2_b32 exec_lo, exec_lo, s6
	s_cbranch_execnz .LBB53_98
.LBB53_99:
	s_endpgm
	.section	.rodata,"a",@progbits
	.p2align	6, 0x0
	.amdhsa_kernel _ZN9rocsparseL17kernel_correctionILi1024ELi16E21rocsparse_complex_numIdEiiEEvT3_T2_PKS4_S6_PKS3_PKT1_21rocsparse_index_base_S6_S6_S8_PS9_SC_S6_S6_S8_SD_SC_SD_PNS_15floating_traitsIS9_E6data_tEPKSG_
		.amdhsa_group_segment_fixed_size 512
		.amdhsa_private_segment_fixed_size 0
		.amdhsa_kernarg_size 152
		.amdhsa_user_sgpr_count 6
		.amdhsa_user_sgpr_private_segment_buffer 1
		.amdhsa_user_sgpr_dispatch_ptr 0
		.amdhsa_user_sgpr_queue_ptr 0
		.amdhsa_user_sgpr_kernarg_segment_ptr 1
		.amdhsa_user_sgpr_dispatch_id 0
		.amdhsa_user_sgpr_flat_scratch_init 0
		.amdhsa_user_sgpr_private_segment_size 0
		.amdhsa_wavefront_size32 1
		.amdhsa_uses_dynamic_stack 0
		.amdhsa_system_sgpr_private_segment_wavefront_offset 0
		.amdhsa_system_sgpr_workgroup_id_x 1
		.amdhsa_system_sgpr_workgroup_id_y 0
		.amdhsa_system_sgpr_workgroup_id_z 0
		.amdhsa_system_sgpr_workgroup_info 0
		.amdhsa_system_vgpr_workitem_id 0
		.amdhsa_next_free_vgpr 49
		.amdhsa_next_free_sgpr 52
		.amdhsa_reserve_vcc 1
		.amdhsa_reserve_flat_scratch 0
		.amdhsa_float_round_mode_32 0
		.amdhsa_float_round_mode_16_64 0
		.amdhsa_float_denorm_mode_32 3
		.amdhsa_float_denorm_mode_16_64 3
		.amdhsa_dx10_clamp 1
		.amdhsa_ieee_mode 1
		.amdhsa_fp16_overflow 0
		.amdhsa_workgroup_processor_mode 1
		.amdhsa_memory_ordered 1
		.amdhsa_forward_progress 1
		.amdhsa_shared_vgpr_count 0
		.amdhsa_exception_fp_ieee_invalid_op 0
		.amdhsa_exception_fp_denorm_src 0
		.amdhsa_exception_fp_ieee_div_zero 0
		.amdhsa_exception_fp_ieee_overflow 0
		.amdhsa_exception_fp_ieee_underflow 0
		.amdhsa_exception_fp_ieee_inexact 0
		.amdhsa_exception_int_div_zero 0
	.end_amdhsa_kernel
	.section	.text._ZN9rocsparseL17kernel_correctionILi1024ELi16E21rocsparse_complex_numIdEiiEEvT3_T2_PKS4_S6_PKS3_PKT1_21rocsparse_index_base_S6_S6_S8_PS9_SC_S6_S6_S8_SD_SC_SD_PNS_15floating_traitsIS9_E6data_tEPKSG_,"axG",@progbits,_ZN9rocsparseL17kernel_correctionILi1024ELi16E21rocsparse_complex_numIdEiiEEvT3_T2_PKS4_S6_PKS3_PKT1_21rocsparse_index_base_S6_S6_S8_PS9_SC_S6_S6_S8_SD_SC_SD_PNS_15floating_traitsIS9_E6data_tEPKSG_,comdat
.Lfunc_end53:
	.size	_ZN9rocsparseL17kernel_correctionILi1024ELi16E21rocsparse_complex_numIdEiiEEvT3_T2_PKS4_S6_PKS3_PKT1_21rocsparse_index_base_S6_S6_S8_PS9_SC_S6_S6_S8_SD_SC_SD_PNS_15floating_traitsIS9_E6data_tEPKSG_, .Lfunc_end53-_ZN9rocsparseL17kernel_correctionILi1024ELi16E21rocsparse_complex_numIdEiiEEvT3_T2_PKS4_S6_PKS3_PKT1_21rocsparse_index_base_S6_S6_S8_PS9_SC_S6_S6_S8_SD_SC_SD_PNS_15floating_traitsIS9_E6data_tEPKSG_
                                        ; -- End function
	.set _ZN9rocsparseL17kernel_correctionILi1024ELi16E21rocsparse_complex_numIdEiiEEvT3_T2_PKS4_S6_PKS3_PKT1_21rocsparse_index_base_S6_S6_S8_PS9_SC_S6_S6_S8_SD_SC_SD_PNS_15floating_traitsIS9_E6data_tEPKSG_.num_vgpr, 49
	.set _ZN9rocsparseL17kernel_correctionILi1024ELi16E21rocsparse_complex_numIdEiiEEvT3_T2_PKS4_S6_PKS3_PKT1_21rocsparse_index_base_S6_S6_S8_PS9_SC_S6_S6_S8_SD_SC_SD_PNS_15floating_traitsIS9_E6data_tEPKSG_.num_agpr, 0
	.set _ZN9rocsparseL17kernel_correctionILi1024ELi16E21rocsparse_complex_numIdEiiEEvT3_T2_PKS4_S6_PKS3_PKT1_21rocsparse_index_base_S6_S6_S8_PS9_SC_S6_S6_S8_SD_SC_SD_PNS_15floating_traitsIS9_E6data_tEPKSG_.numbered_sgpr, 52
	.set _ZN9rocsparseL17kernel_correctionILi1024ELi16E21rocsparse_complex_numIdEiiEEvT3_T2_PKS4_S6_PKS3_PKT1_21rocsparse_index_base_S6_S6_S8_PS9_SC_S6_S6_S8_SD_SC_SD_PNS_15floating_traitsIS9_E6data_tEPKSG_.num_named_barrier, 0
	.set _ZN9rocsparseL17kernel_correctionILi1024ELi16E21rocsparse_complex_numIdEiiEEvT3_T2_PKS4_S6_PKS3_PKT1_21rocsparse_index_base_S6_S6_S8_PS9_SC_S6_S6_S8_SD_SC_SD_PNS_15floating_traitsIS9_E6data_tEPKSG_.private_seg_size, 0
	.set _ZN9rocsparseL17kernel_correctionILi1024ELi16E21rocsparse_complex_numIdEiiEEvT3_T2_PKS4_S6_PKS3_PKT1_21rocsparse_index_base_S6_S6_S8_PS9_SC_S6_S6_S8_SD_SC_SD_PNS_15floating_traitsIS9_E6data_tEPKSG_.uses_vcc, 1
	.set _ZN9rocsparseL17kernel_correctionILi1024ELi16E21rocsparse_complex_numIdEiiEEvT3_T2_PKS4_S6_PKS3_PKT1_21rocsparse_index_base_S6_S6_S8_PS9_SC_S6_S6_S8_SD_SC_SD_PNS_15floating_traitsIS9_E6data_tEPKSG_.uses_flat_scratch, 0
	.set _ZN9rocsparseL17kernel_correctionILi1024ELi16E21rocsparse_complex_numIdEiiEEvT3_T2_PKS4_S6_PKS3_PKT1_21rocsparse_index_base_S6_S6_S8_PS9_SC_S6_S6_S8_SD_SC_SD_PNS_15floating_traitsIS9_E6data_tEPKSG_.has_dyn_sized_stack, 0
	.set _ZN9rocsparseL17kernel_correctionILi1024ELi16E21rocsparse_complex_numIdEiiEEvT3_T2_PKS4_S6_PKS3_PKT1_21rocsparse_index_base_S6_S6_S8_PS9_SC_S6_S6_S8_SD_SC_SD_PNS_15floating_traitsIS9_E6data_tEPKSG_.has_recursion, 0
	.set _ZN9rocsparseL17kernel_correctionILi1024ELi16E21rocsparse_complex_numIdEiiEEvT3_T2_PKS4_S6_PKS3_PKT1_21rocsparse_index_base_S6_S6_S8_PS9_SC_S6_S6_S8_SD_SC_SD_PNS_15floating_traitsIS9_E6data_tEPKSG_.has_indirect_call, 0
	.section	.AMDGPU.csdata,"",@progbits
; Kernel info:
; codeLenInByte = 4884
; TotalNumSgprs: 54
; NumVgprs: 49
; ScratchSize: 0
; MemoryBound: 1
; FloatMode: 240
; IeeeMode: 1
; LDSByteSize: 512 bytes/workgroup (compile time only)
; SGPRBlocks: 0
; VGPRBlocks: 6
; NumSGPRsForWavesPerEU: 54
; NumVGPRsForWavesPerEU: 49
; Occupancy: 16
; WaveLimiterHint : 1
; COMPUTE_PGM_RSRC2:SCRATCH_EN: 0
; COMPUTE_PGM_RSRC2:USER_SGPR: 6
; COMPUTE_PGM_RSRC2:TRAP_HANDLER: 0
; COMPUTE_PGM_RSRC2:TGID_X_EN: 1
; COMPUTE_PGM_RSRC2:TGID_Y_EN: 0
; COMPUTE_PGM_RSRC2:TGID_Z_EN: 0
; COMPUTE_PGM_RSRC2:TIDIG_COMP_CNT: 0
	.section	.text._ZN9rocsparseL17kernel_correctionILi1024ELi32E21rocsparse_complex_numIdEiiEEvT3_T2_PKS4_S6_PKS3_PKT1_21rocsparse_index_base_S6_S6_S8_PS9_SC_S6_S6_S8_SD_SC_SD_PNS_15floating_traitsIS9_E6data_tEPKSG_,"axG",@progbits,_ZN9rocsparseL17kernel_correctionILi1024ELi32E21rocsparse_complex_numIdEiiEEvT3_T2_PKS4_S6_PKS3_PKT1_21rocsparse_index_base_S6_S6_S8_PS9_SC_S6_S6_S8_SD_SC_SD_PNS_15floating_traitsIS9_E6data_tEPKSG_,comdat
	.globl	_ZN9rocsparseL17kernel_correctionILi1024ELi32E21rocsparse_complex_numIdEiiEEvT3_T2_PKS4_S6_PKS3_PKT1_21rocsparse_index_base_S6_S6_S8_PS9_SC_S6_S6_S8_SD_SC_SD_PNS_15floating_traitsIS9_E6data_tEPKSG_ ; -- Begin function _ZN9rocsparseL17kernel_correctionILi1024ELi32E21rocsparse_complex_numIdEiiEEvT3_T2_PKS4_S6_PKS3_PKT1_21rocsparse_index_base_S6_S6_S8_PS9_SC_S6_S6_S8_SD_SC_SD_PNS_15floating_traitsIS9_E6data_tEPKSG_
	.p2align	8
	.type	_ZN9rocsparseL17kernel_correctionILi1024ELi32E21rocsparse_complex_numIdEiiEEvT3_T2_PKS4_S6_PKS3_PKT1_21rocsparse_index_base_S6_S6_S8_PS9_SC_S6_S6_S8_SD_SC_SD_PNS_15floating_traitsIS9_E6data_tEPKSG_,@function
_ZN9rocsparseL17kernel_correctionILi1024ELi32E21rocsparse_complex_numIdEiiEEvT3_T2_PKS4_S6_PKS3_PKT1_21rocsparse_index_base_S6_S6_S8_PS9_SC_S6_S6_S8_SD_SC_SD_PNS_15floating_traitsIS9_E6data_tEPKSG_: ; @_ZN9rocsparseL17kernel_correctionILi1024ELi32E21rocsparse_complex_numIdEiiEEvT3_T2_PKS4_S6_PKS3_PKT1_21rocsparse_index_base_S6_S6_S8_PS9_SC_S6_S6_S8_SD_SC_SD_PNS_15floating_traitsIS9_E6data_tEPKSG_
; %bb.0:
	s_load_dword s33, s[4:5], 0x0
	v_lshrrev_b32_e32 v28, 5, v0
	s_lshl_b32 s35, s6, 10
	v_mov_b32_e32 v7, 0
	v_and_b32_e32 v29, 31, v0
	v_mov_b32_e32 v8, 0
	v_or_b32_e32 v5, s35, v28
	s_mov_b32 s3, exec_lo
	s_waitcnt lgkmcnt(0)
	v_cmpx_gt_i32_e64 s33, v5
	s_cbranch_execz .LBB54_81
; %bb.1:
	v_mov_b32_e32 v7, 0
	v_mov_b32_e32 v8, 0
	s_addk_i32 s35, 0x400
	s_mov_b32 s34, exec_lo
	v_cmpx_gt_u32_e64 s35, v5
	s_cbranch_execz .LBB54_80
; %bb.2:
	s_clause 0x6
	s_load_dword s36, s[4:5], 0x28
	s_load_dwordx8 s[8:15], s[4:5], 0x58
	s_load_dwordx8 s[16:23], s[4:5], 0x30
	;; [unrolled: 1-line block ×3, first 2 shown]
	s_load_dword s37, s[4:5], 0x50
	s_load_dwordx2 s[6:7], s[4:5], 0x80
	s_load_dword s38, s[4:5], 0x78
	v_mov_b32_e32 v7, 0
	v_mov_b32_e32 v8, 0
	;; [unrolled: 1-line block ×3, first 2 shown]
	s_mov_b32 s39, 0
	s_waitcnt lgkmcnt(0)
	v_subrev_nc_u32_e32 v30, s36, v29
	s_branch .LBB54_6
.LBB54_3:                               ;   in Loop: Header=BB54_6 Depth=1
	s_or_b32 exec_lo, exec_lo, s42
.LBB54_4:                               ;   in Loop: Header=BB54_6 Depth=1
	s_or_b32 exec_lo, exec_lo, s41
.LBB54_5:                               ;   in Loop: Header=BB54_6 Depth=1
	s_or_b32 exec_lo, exec_lo, s40
	v_add_nc_u32_e32 v5, 32, v5
	v_cmp_le_u32_e32 vcc_lo, s35, v5
	s_or_b32 s39, vcc_lo, s39
	s_andn2_b32 exec_lo, exec_lo, s39
	s_cbranch_execz .LBB54_79
.LBB54_6:                               ; =>This Loop Header: Depth=1
                                        ;     Child Loop BB54_10 Depth 2
                                        ;       Child Loop BB54_14 Depth 3
                                        ;       Child Loop BB54_36 Depth 3
	;; [unrolled: 1-line block ×5, first 2 shown]
	s_mov_b32 s40, exec_lo
	v_cmpx_gt_i32_e64 s33, v5
	s_cbranch_execz .LBB54_5
; %bb.7:                                ;   in Loop: Header=BB54_6 Depth=1
	v_ashrrev_i32_e32 v6, 31, v5
	s_mov_b32 s41, exec_lo
	v_lshlrev_b64 v[1:2], 2, v[5:6]
	v_add_co_u32 v3, vcc_lo, s24, v1
	v_add_co_ci_u32_e64 v4, null, s25, v2, vcc_lo
	v_add_co_u32 v11, vcc_lo, s26, v1
	v_add_co_ci_u32_e64 v12, null, s27, v2, vcc_lo
	global_load_dword v3, v[3:4], off
	global_load_dword v4, v[11:12], off
	s_waitcnt vmcnt(1)
	v_add_nc_u32_e32 v11, v30, v3
	s_waitcnt vmcnt(0)
	v_subrev_nc_u32_e32 v6, s36, v4
	v_cmpx_lt_i32_e64 v11, v6
	s_cbranch_execz .LBB54_4
; %bb.8:                                ;   in Loop: Header=BB54_6 Depth=1
	v_add_co_u32 v3, vcc_lo, s16, v1
	v_add_co_ci_u32_e64 v4, null, s17, v2, vcc_lo
	v_add_co_u32 v1, vcc_lo, s18, v1
	v_add_co_ci_u32_e64 v2, null, s19, v2, vcc_lo
	global_load_dword v3, v[3:4], off
	s_mov_b32 s42, 0
	global_load_dword v4, v[1:2], off
	s_waitcnt vmcnt(1)
	v_subrev_nc_u32_e32 v13, s37, v3
	s_waitcnt vmcnt(0)
	v_sub_nc_u32_e32 v31, v4, v3
	v_ashrrev_i32_e32 v14, 31, v13
	v_cmp_lt_i32_e64 s0, 0, v31
	v_lshlrev_b64 v[1:2], 2, v[13:14]
	v_lshlrev_b64 v[3:4], 4, v[13:14]
	v_add_co_u32 v32, vcc_lo, s20, v1
	v_add_co_ci_u32_e64 v33, null, s21, v2, vcc_lo
	v_add_co_u32 v34, vcc_lo, s22, v3
	v_add_co_ci_u32_e64 v35, null, s23, v4, vcc_lo
	s_branch .LBB54_10
.LBB54_9:                               ;   in Loop: Header=BB54_10 Depth=2
	s_or_b32 exec_lo, exec_lo, s43
	v_cmp_nlg_f64_e64 s2, 0x7ff00000, |v[1:2]|
	v_cmp_gt_f64_e32 vcc_lo, v[7:8], v[1:2]
	v_add_nc_u32_e32 v11, 32, v11
	v_cmp_ge_i32_e64 s1, v11, v6
	s_or_b32 vcc_lo, s2, vcc_lo
	s_or_b32 s42, s1, s42
	v_cndmask_b32_e32 v8, v2, v8, vcc_lo
	v_cndmask_b32_e32 v7, v1, v7, vcc_lo
	s_andn2_b32 exec_lo, exec_lo, s42
	s_cbranch_execz .LBB54_3
.LBB54_10:                              ;   Parent Loop BB54_6 Depth=1
                                        ; =>  This Loop Header: Depth=2
                                        ;       Child Loop BB54_14 Depth 3
                                        ;       Child Loop BB54_36 Depth 3
	;; [unrolled: 1-line block ×5, first 2 shown]
	v_ashrrev_i32_e32 v12, 31, v11
	v_mov_b32_e32 v9, 0
	v_mov_b32_e32 v22, 0
	;; [unrolled: 1-line block ×4, first 2 shown]
	v_lshlrev_b64 v[1:2], 2, v[11:12]
	v_mov_b32_e32 v25, 0
	v_mov_b32_e32 v19, v9
	v_add_co_u32 v1, vcc_lo, s28, v1
	v_add_co_ci_u32_e64 v2, null, s29, v2, vcc_lo
	global_load_dword v1, v[1:2], off
	s_waitcnt vmcnt(0)
	v_subrev_nc_u32_e32 v14, s36, v1
	v_ashrrev_i32_e32 v15, 31, v14
	v_lshlrev_b64 v[1:2], 2, v[14:15]
	v_add_co_u32 v3, vcc_lo, s8, v1
	v_add_co_ci_u32_e64 v4, null, s9, v2, vcc_lo
	v_add_co_u32 v1, vcc_lo, s10, v1
	v_add_co_ci_u32_e64 v2, null, s11, v2, vcc_lo
	global_load_dword v3, v[3:4], off
	global_load_dword v1, v[1:2], off
	s_waitcnt vmcnt(1)
	v_subrev_nc_u32_e32 v18, s38, v3
	s_waitcnt vmcnt(0)
	v_sub_nc_u32_e32 v36, v1, v3
	s_and_saveexec_b32 s2, s0
	s_cbranch_execz .LBB54_18
; %bb.11:                               ;   in Loop: Header=BB54_10 Depth=2
	v_ashrrev_i32_e32 v19, 31, v18
	v_mov_b32_e32 v22, 0
	v_mov_b32_e32 v24, 0
	;; [unrolled: 1-line block ×4, first 2 shown]
	v_lshlrev_b64 v[1:2], 2, v[18:19]
	v_lshlrev_b64 v[3:4], 4, v[18:19]
	v_mov_b32_e32 v19, 0
	v_mov_b32_e32 v9, 0
	s_mov_b32 s43, 0
                                        ; implicit-def: $sgpr44
	v_add_co_u32 v1, vcc_lo, s12, v1
	v_add_co_ci_u32_e64 v2, null, s13, v2, vcc_lo
	v_add_co_u32 v3, vcc_lo, s14, v3
	v_add_co_ci_u32_e64 v4, null, s15, v4, vcc_lo
	s_branch .LBB54_14
.LBB54_12:                              ;   in Loop: Header=BB54_14 Depth=3
	s_or_b32 exec_lo, exec_lo, s1
	v_cmp_le_i32_e32 vcc_lo, v16, v17
	v_cmp_ge_i32_e64 s1, v16, v17
	v_add_co_ci_u32_e64 v9, null, 0, v9, vcc_lo
	v_add_co_ci_u32_e64 v19, null, 0, v19, s1
	s_andn2_b32 s1, s44, exec_lo
	v_cmp_ge_i32_e32 vcc_lo, v9, v31
	s_and_b32 s44, vcc_lo, exec_lo
	s_or_b32 s44, s1, s44
.LBB54_13:                              ;   in Loop: Header=BB54_14 Depth=3
	s_or_b32 exec_lo, exec_lo, s45
	s_and_b32 s1, exec_lo, s44
	s_or_b32 s43, s1, s43
	s_andn2_b32 exec_lo, exec_lo, s43
	s_cbranch_execz .LBB54_17
.LBB54_14:                              ;   Parent Loop BB54_6 Depth=1
                                        ;     Parent Loop BB54_10 Depth=2
                                        ; =>    This Inner Loop Header: Depth=3
	s_or_b32 s44, s44, exec_lo
	s_mov_b32 s45, exec_lo
	v_cmpx_lt_i32_e64 v19, v36
	s_cbranch_execz .LBB54_13
; %bb.15:                               ;   in Loop: Header=BB54_14 Depth=3
	v_mov_b32_e32 v20, v10
	v_lshlrev_b64 v[16:17], 2, v[9:10]
	s_mov_b32 s1, exec_lo
	v_lshlrev_b64 v[26:27], 2, v[19:20]
	v_add_co_u32 v16, vcc_lo, v32, v16
	v_add_co_ci_u32_e64 v17, null, v33, v17, vcc_lo
	v_add_co_u32 v26, vcc_lo, v1, v26
	v_add_co_ci_u32_e64 v27, null, v2, v27, vcc_lo
	global_load_dword v16, v[16:17], off
	global_load_dword v17, v[26:27], off
	s_waitcnt vmcnt(1)
	v_subrev_nc_u32_e32 v16, s37, v16
	s_waitcnt vmcnt(0)
	v_subrev_nc_u32_e32 v17, s38, v17
	v_cmpx_eq_u32_e64 v16, v17
	s_cbranch_execz .LBB54_12
; %bb.16:                               ;   in Loop: Header=BB54_14 Depth=3
	v_lshlrev_b64 v[26:27], 4, v[9:10]
	v_lshlrev_b64 v[20:21], 4, v[19:20]
	v_add_co_u32 v26, vcc_lo, v34, v26
	v_add_co_ci_u32_e64 v27, null, v35, v27, vcc_lo
	v_add_co_u32 v20, vcc_lo, v3, v20
	v_add_co_ci_u32_e64 v21, null, v4, v21, vcc_lo
	global_load_dwordx4 v[37:40], v[26:27], off
	global_load_dwordx4 v[41:44], v[20:21], off
	s_waitcnt vmcnt(0)
	v_fma_f64 v[20:21], v[37:38], v[41:42], v[22:23]
	v_fma_f64 v[24:25], v[39:40], v[41:42], v[24:25]
	v_fma_f64 v[22:23], -v[39:40], v[43:44], v[20:21]
	v_fma_f64 v[24:25], v[37:38], v[43:44], v[24:25]
	s_branch .LBB54_12
.LBB54_17:                              ;   in Loop: Header=BB54_10 Depth=2
	s_or_b32 exec_lo, exec_lo, s43
.LBB54_18:                              ;   in Loop: Header=BB54_10 Depth=2
	s_or_b32 exec_lo, exec_lo, s2
	v_lshlrev_b64 v[1:2], 4, v[11:12]
	v_cmp_le_i32_e64 s2, v5, v14
	s_mov_b32 s1, exec_lo
	v_add_co_u32 v1, vcc_lo, s30, v1
	v_add_co_ci_u32_e64 v2, null, s31, v2, vcc_lo
	global_load_dwordx4 v[1:4], v[1:2], off
	s_waitcnt vmcnt(0)
	v_add_f64 v[20:21], v[1:2], -v[22:23]
	v_add_f64 v[16:17], v[3:4], -v[24:25]
	v_cmpx_gt_i32_e64 v5, v14
	s_cbranch_execz .LBB54_20
; %bb.19:                               ;   in Loop: Header=BB54_10 Depth=2
	v_lshlrev_b64 v[26:27], 4, v[14:15]
	v_add_co_u32 v26, vcc_lo, s6, v26
	v_add_co_ci_u32_e64 v27, null, s7, v27, vcc_lo
	global_load_dwordx4 v[37:40], v[26:27], off
	s_waitcnt vmcnt(0)
	v_mul_f64 v[26:27], v[39:40], v[39:40]
	v_fma_f64 v[26:27], v[37:38], v[37:38], v[26:27]
	v_div_scale_f64 v[41:42], null, v[26:27], v[26:27], 1.0
	v_div_scale_f64 v[47:48], vcc_lo, 1.0, v[26:27], 1.0
	v_rcp_f64_e32 v[43:44], v[41:42]
	v_fma_f64 v[45:46], -v[41:42], v[43:44], 1.0
	v_fma_f64 v[43:44], v[43:44], v[45:46], v[43:44]
	v_fma_f64 v[45:46], -v[41:42], v[43:44], 1.0
	v_fma_f64 v[43:44], v[43:44], v[45:46], v[43:44]
	v_mul_f64 v[45:46], v[47:48], v[43:44]
	v_fma_f64 v[41:42], -v[41:42], v[45:46], v[47:48]
	v_div_fmas_f64 v[41:42], v[41:42], v[43:44], v[45:46]
	v_mul_f64 v[43:44], v[16:17], v[39:40]
	v_mul_f64 v[39:40], v[39:40], -v[20:21]
	v_div_fixup_f64 v[26:27], v[41:42], v[26:27], 1.0
	v_fma_f64 v[20:21], v[20:21], v[37:38], v[43:44]
	v_fma_f64 v[16:17], v[16:17], v[37:38], v[39:40]
	v_mul_f64 v[20:21], v[20:21], v[26:27]
	v_mul_f64 v[16:17], v[16:17], v[26:27]
.LBB54_20:                              ;   in Loop: Header=BB54_10 Depth=2
	s_or_b32 exec_lo, exec_lo, s1
	v_cmp_lt_i32_e64 s1, v19, v36
	s_mov_b32 s43, exec_lo
	v_cmpx_ge_i32_e64 v19, v36
	s_xor_b32 s43, exec_lo, s43
	s_cbranch_execnz .LBB54_33
; %bb.21:                               ;   in Loop: Header=BB54_10 Depth=2
	s_andn2_saveexec_b32 s43, s43
	s_cbranch_execnz .LBB54_49
.LBB54_22:                              ;   in Loop: Header=BB54_10 Depth=2
	s_or_b32 exec_lo, exec_lo, s43
	s_mov_b32 s43, exec_lo
	v_cmpx_eq_u32_e64 v5, v14
	s_cbranch_execz .LBB54_24
.LBB54_23:                              ;   in Loop: Header=BB54_10 Depth=2
	v_lshlrev_b64 v[26:27], 4, v[14:15]
	v_add_co_u32 v26, vcc_lo, s6, v26
	v_add_co_ci_u32_e64 v27, null, s7, v27, vcc_lo
	global_load_dwordx4 v[37:40], v[26:27], off
	s_waitcnt vmcnt(0)
	v_add_f64 v[22:23], v[22:23], v[37:38]
	v_add_f64 v[24:25], v[24:25], v[39:40]
.LBB54_24:                              ;   in Loop: Header=BB54_10 Depth=2
	s_or_b32 exec_lo, exec_lo, s43
	v_add_f64 v[22:23], v[1:2], -v[22:23]
	v_add_f64 v[24:25], v[3:4], -v[24:25]
	s_mov_b32 s43, exec_lo
	v_cmp_gt_f64_e32 vcc_lo, 0, v[22:23]
	v_xor_b32_e32 v1, 0x80000000, v23
	v_xor_b32_e32 v2, 0x80000000, v25
	v_mov_b32_e32 v3, v24
	v_cndmask_b32_e32 v23, v23, v1, vcc_lo
	v_cmp_gt_f64_e32 vcc_lo, 0, v[24:25]
	v_cndmask_b32_e32 v4, v25, v2, vcc_lo
                                        ; implicit-def: $vgpr1_vgpr2
	v_cmpx_ngt_f64_e32 v[22:23], v[3:4]
	s_xor_b32 s43, exec_lo, s43
	s_cbranch_execz .LBB54_28
; %bb.25:                               ;   in Loop: Header=BB54_10 Depth=2
	v_mov_b32_e32 v1, 0
	v_mov_b32_e32 v2, 0
	s_mov_b32 s44, exec_lo
	v_cmpx_neq_f64_e32 0, v[24:25]
	s_cbranch_execz .LBB54_27
; %bb.26:                               ;   in Loop: Header=BB54_10 Depth=2
	v_div_scale_f64 v[1:2], null, v[3:4], v[3:4], v[22:23]
	v_div_scale_f64 v[37:38], vcc_lo, v[22:23], v[3:4], v[22:23]
	v_rcp_f64_e32 v[24:25], v[1:2]
	v_fma_f64 v[26:27], -v[1:2], v[24:25], 1.0
	v_fma_f64 v[24:25], v[24:25], v[26:27], v[24:25]
	v_fma_f64 v[26:27], -v[1:2], v[24:25], 1.0
	v_fma_f64 v[24:25], v[24:25], v[26:27], v[24:25]
	v_mul_f64 v[26:27], v[37:38], v[24:25]
	v_fma_f64 v[1:2], -v[1:2], v[26:27], v[37:38]
	v_div_fmas_f64 v[1:2], v[1:2], v[24:25], v[26:27]
	v_div_fixup_f64 v[1:2], v[1:2], v[3:4], v[22:23]
	v_fma_f64 v[1:2], v[1:2], v[1:2], 1.0
	v_cmp_gt_f64_e32 vcc_lo, 0x10000000, v[1:2]
	v_cndmask_b32_e64 v12, 0, 0x100, vcc_lo
	v_ldexp_f64 v[1:2], v[1:2], v12
	v_cndmask_b32_e64 v12, 0, 0xffffff80, vcc_lo
	v_rsq_f64_e32 v[22:23], v[1:2]
	v_cmp_class_f64_e64 vcc_lo, v[1:2], 0x260
	v_mul_f64 v[24:25], v[1:2], v[22:23]
	v_mul_f64 v[22:23], v[22:23], 0.5
	v_fma_f64 v[26:27], -v[22:23], v[24:25], 0.5
	v_fma_f64 v[24:25], v[24:25], v[26:27], v[24:25]
	v_fma_f64 v[22:23], v[22:23], v[26:27], v[22:23]
	v_fma_f64 v[26:27], -v[24:25], v[24:25], v[1:2]
	v_fma_f64 v[24:25], v[26:27], v[22:23], v[24:25]
	v_fma_f64 v[26:27], -v[24:25], v[24:25], v[1:2]
	v_fma_f64 v[22:23], v[26:27], v[22:23], v[24:25]
	v_ldexp_f64 v[22:23], v[22:23], v12
	v_cndmask_b32_e32 v2, v23, v2, vcc_lo
	v_cndmask_b32_e32 v1, v22, v1, vcc_lo
	v_mul_f64 v[1:2], v[3:4], v[1:2]
.LBB54_27:                              ;   in Loop: Header=BB54_10 Depth=2
	s_or_b32 exec_lo, exec_lo, s44
                                        ; implicit-def: $vgpr22_vgpr23
                                        ; implicit-def: $vgpr3_vgpr4
.LBB54_28:                              ;   in Loop: Header=BB54_10 Depth=2
	s_andn2_saveexec_b32 s43, s43
	s_cbranch_execz .LBB54_30
; %bb.29:                               ;   in Loop: Header=BB54_10 Depth=2
	v_div_scale_f64 v[1:2], null, v[22:23], v[22:23], v[3:4]
	v_div_scale_f64 v[37:38], vcc_lo, v[3:4], v[22:23], v[3:4]
	v_rcp_f64_e32 v[24:25], v[1:2]
	v_fma_f64 v[26:27], -v[1:2], v[24:25], 1.0
	v_fma_f64 v[24:25], v[24:25], v[26:27], v[24:25]
	v_fma_f64 v[26:27], -v[1:2], v[24:25], 1.0
	v_fma_f64 v[24:25], v[24:25], v[26:27], v[24:25]
	v_mul_f64 v[26:27], v[37:38], v[24:25]
	v_fma_f64 v[1:2], -v[1:2], v[26:27], v[37:38]
	v_div_fmas_f64 v[1:2], v[1:2], v[24:25], v[26:27]
	v_div_fixup_f64 v[1:2], v[1:2], v[22:23], v[3:4]
	v_fma_f64 v[1:2], v[1:2], v[1:2], 1.0
	v_cmp_gt_f64_e32 vcc_lo, 0x10000000, v[1:2]
	v_cndmask_b32_e64 v3, 0, 0x100, vcc_lo
	v_cndmask_b32_e64 v12, 0, 0xffffff80, vcc_lo
	v_ldexp_f64 v[1:2], v[1:2], v3
	v_rsq_f64_e32 v[3:4], v[1:2]
	v_cmp_class_f64_e64 vcc_lo, v[1:2], 0x260
	v_mul_f64 v[24:25], v[1:2], v[3:4]
	v_mul_f64 v[3:4], v[3:4], 0.5
	v_fma_f64 v[26:27], -v[3:4], v[24:25], 0.5
	v_fma_f64 v[24:25], v[24:25], v[26:27], v[24:25]
	v_fma_f64 v[3:4], v[3:4], v[26:27], v[3:4]
	v_fma_f64 v[26:27], -v[24:25], v[24:25], v[1:2]
	v_fma_f64 v[24:25], v[26:27], v[3:4], v[24:25]
	v_fma_f64 v[26:27], -v[24:25], v[24:25], v[1:2]
	v_fma_f64 v[3:4], v[26:27], v[3:4], v[24:25]
	v_ldexp_f64 v[3:4], v[3:4], v12
	v_cndmask_b32_e32 v2, v4, v2, vcc_lo
	v_cndmask_b32_e32 v1, v3, v1, vcc_lo
	v_mul_f64 v[1:2], v[22:23], v[1:2]
.LBB54_30:                              ;   in Loop: Header=BB54_10 Depth=2
	s_or_b32 exec_lo, exec_lo, s43
	v_cmp_gt_f64_e32 vcc_lo, 0, v[20:21]
	v_xor_b32_e32 v4, 0x80000000, v21
	v_xor_b32_e32 v12, 0x80000000, v17
	v_mov_b32_e32 v3, v20
	v_mov_b32_e32 v22, v16
	s_mov_b32 s43, exec_lo
                                        ; implicit-def: $vgpr24_vgpr25
	v_cndmask_b32_e32 v4, v21, v4, vcc_lo
	v_cmp_gt_f64_e32 vcc_lo, 0, v[16:17]
	v_cndmask_b32_e32 v23, v17, v12, vcc_lo
	v_cmpx_ngt_f64_e32 v[3:4], v[22:23]
	s_xor_b32 s43, exec_lo, s43
	s_cbranch_execnz .LBB54_38
; %bb.31:                               ;   in Loop: Header=BB54_10 Depth=2
	s_andn2_saveexec_b32 s43, s43
	s_cbranch_execnz .LBB54_41
.LBB54_32:                              ;   in Loop: Header=BB54_10 Depth=2
	s_or_b32 exec_lo, exec_lo, s43
	v_cmp_class_f64_e64 s44, v[24:25], 0x1f8
	s_and_saveexec_b32 s43, s44
	s_cbranch_execz .LBB54_9
	s_branch .LBB54_42
.LBB54_33:                              ;   in Loop: Header=BB54_10 Depth=2
	s_mov_b32 s44, exec_lo
	v_cmpx_lt_i32_e64 v9, v31
	s_cbranch_execz .LBB54_48
; %bb.34:                               ;   in Loop: Header=BB54_10 Depth=2
	v_mov_b32_e32 v12, v9
	s_mov_b32 s46, 0
                                        ; implicit-def: $sgpr45
                                        ; implicit-def: $sgpr48
                                        ; implicit-def: $sgpr47
	s_inst_prefetch 0x1
	s_branch .LBB54_36
	.p2align	6
.LBB54_35:                              ;   in Loop: Header=BB54_36 Depth=3
	s_or_b32 exec_lo, exec_lo, s49
	s_and_b32 s49, exec_lo, s48
	s_or_b32 s46, s49, s46
	s_andn2_b32 s45, s45, exec_lo
	s_and_b32 s49, s47, exec_lo
	s_or_b32 s45, s45, s49
	s_andn2_b32 exec_lo, exec_lo, s46
	s_cbranch_execz .LBB54_45
.LBB54_36:                              ;   Parent Loop BB54_6 Depth=1
                                        ;     Parent Loop BB54_10 Depth=2
                                        ; =>    This Inner Loop Header: Depth=3
	v_add_nc_u32_e32 v26, v13, v12
	s_or_b32 s47, s47, exec_lo
	s_or_b32 s48, s48, exec_lo
	s_mov_b32 s49, exec_lo
	v_ashrrev_i32_e32 v27, 31, v26
	v_lshlrev_b64 v[37:38], 2, v[26:27]
	v_add_co_u32 v37, vcc_lo, s20, v37
	v_add_co_ci_u32_e64 v38, null, s21, v38, vcc_lo
	global_load_dword v37, v[37:38], off
	s_waitcnt vmcnt(0)
	v_subrev_nc_u32_e32 v37, s37, v37
	v_cmpx_ne_u32_e64 v37, v14
	s_cbranch_execz .LBB54_35
; %bb.37:                               ;   in Loop: Header=BB54_36 Depth=3
	v_add_nc_u32_e32 v12, 1, v12
	s_andn2_b32 s48, s48, exec_lo
	s_andn2_b32 s47, s47, exec_lo
	v_cmp_ge_i32_e32 vcc_lo, v12, v31
	s_and_b32 s50, vcc_lo, exec_lo
	s_or_b32 s48, s48, s50
	s_branch .LBB54_35
.LBB54_38:                              ;   in Loop: Header=BB54_10 Depth=2
	v_mov_b32_e32 v24, 0
	v_mov_b32_e32 v25, 0
	s_mov_b32 s44, exec_lo
	v_cmpx_neq_f64_e32 0, v[16:17]
	s_cbranch_execz .LBB54_40
; %bb.39:                               ;   in Loop: Header=BB54_10 Depth=2
	v_div_scale_f64 v[24:25], null, v[22:23], v[22:23], v[3:4]
	v_div_scale_f64 v[39:40], vcc_lo, v[3:4], v[22:23], v[3:4]
	v_rcp_f64_e32 v[26:27], v[24:25]
	v_fma_f64 v[37:38], -v[24:25], v[26:27], 1.0
	v_fma_f64 v[26:27], v[26:27], v[37:38], v[26:27]
	v_fma_f64 v[37:38], -v[24:25], v[26:27], 1.0
	v_fma_f64 v[26:27], v[26:27], v[37:38], v[26:27]
	v_mul_f64 v[37:38], v[39:40], v[26:27]
	v_fma_f64 v[24:25], -v[24:25], v[37:38], v[39:40]
	v_div_fmas_f64 v[24:25], v[24:25], v[26:27], v[37:38]
	v_div_fixup_f64 v[3:4], v[24:25], v[22:23], v[3:4]
	v_fma_f64 v[3:4], v[3:4], v[3:4], 1.0
	v_cmp_gt_f64_e32 vcc_lo, 0x10000000, v[3:4]
	v_cndmask_b32_e64 v12, 0, 0x100, vcc_lo
	v_ldexp_f64 v[3:4], v[3:4], v12
	v_cndmask_b32_e64 v12, 0, 0xffffff80, vcc_lo
	v_rsq_f64_e32 v[24:25], v[3:4]
	v_cmp_class_f64_e64 vcc_lo, v[3:4], 0x260
	v_mul_f64 v[26:27], v[3:4], v[24:25]
	v_mul_f64 v[24:25], v[24:25], 0.5
	v_fma_f64 v[37:38], -v[24:25], v[26:27], 0.5
	v_fma_f64 v[26:27], v[26:27], v[37:38], v[26:27]
	v_fma_f64 v[24:25], v[24:25], v[37:38], v[24:25]
	v_fma_f64 v[37:38], -v[26:27], v[26:27], v[3:4]
	v_fma_f64 v[26:27], v[37:38], v[24:25], v[26:27]
	v_fma_f64 v[37:38], -v[26:27], v[26:27], v[3:4]
	v_fma_f64 v[24:25], v[37:38], v[24:25], v[26:27]
	v_ldexp_f64 v[24:25], v[24:25], v12
	v_cndmask_b32_e32 v4, v25, v4, vcc_lo
	v_cndmask_b32_e32 v3, v24, v3, vcc_lo
	v_mul_f64 v[24:25], v[22:23], v[3:4]
.LBB54_40:                              ;   in Loop: Header=BB54_10 Depth=2
	s_or_b32 exec_lo, exec_lo, s44
                                        ; implicit-def: $vgpr3_vgpr4
                                        ; implicit-def: $vgpr22_vgpr23
	s_andn2_saveexec_b32 s43, s43
	s_cbranch_execz .LBB54_32
.LBB54_41:                              ;   in Loop: Header=BB54_10 Depth=2
	v_div_scale_f64 v[24:25], null, v[3:4], v[3:4], v[22:23]
	v_div_scale_f64 v[39:40], vcc_lo, v[22:23], v[3:4], v[22:23]
	v_rcp_f64_e32 v[26:27], v[24:25]
	v_fma_f64 v[37:38], -v[24:25], v[26:27], 1.0
	v_fma_f64 v[26:27], v[26:27], v[37:38], v[26:27]
	v_fma_f64 v[37:38], -v[24:25], v[26:27], 1.0
	v_fma_f64 v[26:27], v[26:27], v[37:38], v[26:27]
	v_mul_f64 v[37:38], v[39:40], v[26:27]
	v_fma_f64 v[24:25], -v[24:25], v[37:38], v[39:40]
	v_div_fmas_f64 v[24:25], v[24:25], v[26:27], v[37:38]
	v_div_fixup_f64 v[22:23], v[24:25], v[3:4], v[22:23]
	v_fma_f64 v[22:23], v[22:23], v[22:23], 1.0
	v_cmp_gt_f64_e32 vcc_lo, 0x10000000, v[22:23]
	v_cndmask_b32_e64 v12, 0, 0x100, vcc_lo
	v_ldexp_f64 v[22:23], v[22:23], v12
	v_cndmask_b32_e64 v12, 0, 0xffffff80, vcc_lo
	v_rsq_f64_e32 v[24:25], v[22:23]
	v_cmp_class_f64_e64 vcc_lo, v[22:23], 0x260
	v_mul_f64 v[26:27], v[22:23], v[24:25]
	v_mul_f64 v[24:25], v[24:25], 0.5
	v_fma_f64 v[37:38], -v[24:25], v[26:27], 0.5
	v_fma_f64 v[26:27], v[26:27], v[37:38], v[26:27]
	v_fma_f64 v[24:25], v[24:25], v[37:38], v[24:25]
	v_fma_f64 v[37:38], -v[26:27], v[26:27], v[22:23]
	v_fma_f64 v[26:27], v[37:38], v[24:25], v[26:27]
	v_fma_f64 v[37:38], -v[26:27], v[26:27], v[22:23]
	v_fma_f64 v[24:25], v[37:38], v[24:25], v[26:27]
	v_ldexp_f64 v[24:25], v[24:25], v12
	v_cndmask_b32_e32 v23, v25, v23, vcc_lo
	v_cndmask_b32_e32 v22, v24, v22, vcc_lo
	v_mul_f64 v[24:25], v[3:4], v[22:23]
	s_or_b32 exec_lo, exec_lo, s43
	v_cmp_class_f64_e64 s44, v[24:25], 0x1f8
	s_and_saveexec_b32 s43, s44
	s_cbranch_execz .LBB54_9
.LBB54_42:                              ;   in Loop: Header=BB54_10 Depth=2
	s_mov_b32 s44, 0
                                        ; implicit-def: $vgpr3_vgpr4
	s_and_saveexec_b32 s45, s2
	s_xor_b32 s2, exec_lo, s45
	s_cbranch_execnz .LBB54_56
; %bb.43:                               ;   in Loop: Header=BB54_10 Depth=2
	s_andn2_saveexec_b32 s1, s2
	s_cbranch_execnz .LBB54_69
.LBB54_44:                              ;   in Loop: Header=BB54_10 Depth=2
	s_or_b32 exec_lo, exec_lo, s1
	s_and_b32 exec_lo, exec_lo, s44
	s_cbranch_execz .LBB54_9
	s_branch .LBB54_78
.LBB54_45:                              ;   in Loop: Header=BB54_10 Depth=2
	s_inst_prefetch 0x2
	s_or_b32 exec_lo, exec_lo, s46
	s_and_saveexec_b32 s46, s45
	s_xor_b32 s45, exec_lo, s46
	s_cbranch_execz .LBB54_47
; %bb.46:                               ;   in Loop: Header=BB54_10 Depth=2
	v_lshlrev_b64 v[37:38], 4, v[14:15]
	v_lshlrev_b64 v[26:27], 4, v[26:27]
	v_add_co_u32 v37, vcc_lo, s6, v37
	v_add_co_ci_u32_e64 v38, null, s7, v38, vcc_lo
	v_add_co_u32 v26, vcc_lo, s22, v26
	v_add_co_ci_u32_e64 v27, null, s23, v27, vcc_lo
	global_load_dwordx4 v[37:40], v[37:38], off
	global_load_dwordx4 v[41:44], v[26:27], off
	s_waitcnt vmcnt(0)
	v_mul_f64 v[26:27], v[39:40], -v[43:44]
	v_mul_f64 v[39:40], v[39:40], v[41:42]
	v_fma_f64 v[26:27], v[41:42], v[37:38], v[26:27]
	v_fma_f64 v[37:38], v[43:44], v[37:38], v[39:40]
	v_add_f64 v[22:23], v[22:23], v[26:27]
	v_add_f64 v[24:25], v[24:25], v[37:38]
.LBB54_47:                              ;   in Loop: Header=BB54_10 Depth=2
	s_or_b32 exec_lo, exec_lo, s45
.LBB54_48:                              ;   in Loop: Header=BB54_10 Depth=2
	s_or_b32 exec_lo, exec_lo, s44
	s_andn2_saveexec_b32 s43, s43
	s_cbranch_execz .LBB54_22
.LBB54_49:                              ;   in Loop: Header=BB54_10 Depth=2
	v_mov_b32_e32 v12, v19
	s_mov_b32 s45, 0
                                        ; implicit-def: $sgpr44
                                        ; implicit-def: $sgpr47
                                        ; implicit-def: $sgpr46
	s_inst_prefetch 0x1
	s_branch .LBB54_51
	.p2align	6
.LBB54_50:                              ;   in Loop: Header=BB54_51 Depth=3
	s_or_b32 exec_lo, exec_lo, s48
	s_and_b32 s48, exec_lo, s47
	s_or_b32 s45, s48, s45
	s_andn2_b32 s44, s44, exec_lo
	s_and_b32 s48, s46, exec_lo
	s_or_b32 s44, s44, s48
	s_andn2_b32 exec_lo, exec_lo, s45
	s_cbranch_execz .LBB54_53
.LBB54_51:                              ;   Parent Loop BB54_6 Depth=1
                                        ;     Parent Loop BB54_10 Depth=2
                                        ; =>    This Inner Loop Header: Depth=3
	v_add_nc_u32_e32 v26, v18, v12
	s_or_b32 s46, s46, exec_lo
	s_or_b32 s47, s47, exec_lo
	s_mov_b32 s48, exec_lo
	v_ashrrev_i32_e32 v27, 31, v26
	v_lshlrev_b64 v[37:38], 2, v[26:27]
	v_add_co_u32 v37, vcc_lo, s12, v37
	v_add_co_ci_u32_e64 v38, null, s13, v38, vcc_lo
	global_load_dword v37, v[37:38], off
	s_waitcnt vmcnt(0)
	v_subrev_nc_u32_e32 v37, s38, v37
	v_cmpx_ne_u32_e64 v37, v5
	s_cbranch_execz .LBB54_50
; %bb.52:                               ;   in Loop: Header=BB54_51 Depth=3
	v_add_nc_u32_e32 v12, 1, v12
	s_andn2_b32 s47, s47, exec_lo
	s_andn2_b32 s46, s46, exec_lo
	v_cmp_ge_i32_e32 vcc_lo, v12, v36
	s_and_b32 s49, vcc_lo, exec_lo
	s_or_b32 s47, s47, s49
	s_branch .LBB54_50
.LBB54_53:                              ;   in Loop: Header=BB54_10 Depth=2
	s_inst_prefetch 0x2
	s_or_b32 exec_lo, exec_lo, s45
	s_and_saveexec_b32 s45, s44
	s_xor_b32 s44, exec_lo, s45
	s_cbranch_execz .LBB54_55
; %bb.54:                               ;   in Loop: Header=BB54_10 Depth=2
	v_lshlrev_b64 v[26:27], 4, v[26:27]
	v_add_co_u32 v26, vcc_lo, s14, v26
	v_add_co_ci_u32_e64 v27, null, s15, v27, vcc_lo
	global_load_dwordx4 v[37:40], v[26:27], off
	s_waitcnt vmcnt(0)
	v_add_f64 v[22:23], v[22:23], v[37:38]
	v_add_f64 v[24:25], v[24:25], v[39:40]
.LBB54_55:                              ;   in Loop: Header=BB54_10 Depth=2
	s_or_b32 exec_lo, exec_lo, s44
	s_or_b32 exec_lo, exec_lo, s43
	s_mov_b32 s43, exec_lo
	v_cmpx_eq_u32_e64 v5, v14
	s_cbranch_execnz .LBB54_23
	s_branch .LBB54_24
.LBB54_56:                              ;   in Loop: Header=BB54_10 Depth=2
	s_mov_b32 s45, exec_lo
                                        ; implicit-def: $vgpr3_vgpr4
	v_cmpx_ge_i32_e64 v5, v14
	s_xor_b32 s45, exec_lo, s45
	s_cbranch_execz .LBB54_58
; %bb.57:                               ;   in Loop: Header=BB54_10 Depth=2
	v_lshlrev_b64 v[3:4], 4, v[14:15]
	s_mov_b32 s44, exec_lo
                                        ; implicit-def: $vgpr19
                                        ; implicit-def: $vgpr18
                                        ; implicit-def: $vgpr36
	v_add_co_u32 v3, vcc_lo, s6, v3
	v_add_co_ci_u32_e64 v4, null, s7, v4, vcc_lo
	global_store_dwordx2 v[3:4], v[20:21], off
                                        ; implicit-def: $vgpr20_vgpr21
.LBB54_58:                              ;   in Loop: Header=BB54_10 Depth=2
	s_andn2_saveexec_b32 s45, s45
	s_cbranch_execz .LBB54_68
; %bb.59:                               ;   in Loop: Header=BB54_10 Depth=2
	s_mov_b32 s47, s44
                                        ; implicit-def: $vgpr3_vgpr4
	s_and_saveexec_b32 s46, s1
	s_cbranch_execz .LBB54_67
; %bb.60:                               ;   in Loop: Header=BB54_10 Depth=2
	s_mov_b32 s47, 0
                                        ; implicit-def: $sgpr1
                                        ; implicit-def: $sgpr49
                                        ; implicit-def: $sgpr48
	s_inst_prefetch 0x1
	s_branch .LBB54_62
	.p2align	6
.LBB54_61:                              ;   in Loop: Header=BB54_62 Depth=3
	s_or_b32 exec_lo, exec_lo, s50
	s_and_b32 s50, exec_lo, s49
	s_or_b32 s47, s50, s47
	s_andn2_b32 s1, s1, exec_lo
	s_and_b32 s50, s48, exec_lo
	s_or_b32 s1, s1, s50
	s_andn2_b32 exec_lo, exec_lo, s47
	s_cbranch_execz .LBB54_64
.LBB54_62:                              ;   Parent Loop BB54_6 Depth=1
                                        ;     Parent Loop BB54_10 Depth=2
                                        ; =>    This Inner Loop Header: Depth=3
	v_add_nc_u32_e32 v14, v18, v19
	s_or_b32 s48, s48, exec_lo
	s_or_b32 s49, s49, exec_lo
	s_mov_b32 s50, exec_lo
	v_ashrrev_i32_e32 v15, 31, v14
	v_lshlrev_b64 v[3:4], 2, v[14:15]
	v_add_co_u32 v3, vcc_lo, s12, v3
	v_add_co_ci_u32_e64 v4, null, s13, v4, vcc_lo
	global_load_dword v3, v[3:4], off
	s_waitcnt vmcnt(0)
	v_subrev_nc_u32_e32 v3, s38, v3
	v_cmpx_ne_u32_e64 v3, v5
	s_cbranch_execz .LBB54_61
; %bb.63:                               ;   in Loop: Header=BB54_62 Depth=3
	v_add_nc_u32_e32 v19, 1, v19
	s_andn2_b32 s49, s49, exec_lo
	s_andn2_b32 s48, s48, exec_lo
	v_cmp_ge_i32_e32 vcc_lo, v19, v36
	s_and_b32 s51, vcc_lo, exec_lo
	s_or_b32 s49, s49, s51
	s_branch .LBB54_61
.LBB54_64:                              ;   in Loop: Header=BB54_10 Depth=2
	s_inst_prefetch 0x2
	s_or_b32 exec_lo, exec_lo, s47
	s_mov_b32 s47, s44
                                        ; implicit-def: $vgpr3_vgpr4
	s_and_saveexec_b32 s48, s1
	s_xor_b32 s1, exec_lo, s48
	s_cbranch_execz .LBB54_66
; %bb.65:                               ;   in Loop: Header=BB54_10 Depth=2
	v_lshlrev_b64 v[3:4], 4, v[14:15]
	s_or_b32 s47, s44, exec_lo
	v_add_co_u32 v3, vcc_lo, s14, v3
	v_add_co_ci_u32_e64 v4, null, s15, v4, vcc_lo
	global_store_dwordx2 v[3:4], v[20:21], off
.LBB54_66:                              ;   in Loop: Header=BB54_10 Depth=2
	s_or_b32 exec_lo, exec_lo, s1
	s_andn2_b32 s1, s44, exec_lo
	s_and_b32 s47, s47, exec_lo
	s_or_b32 s47, s1, s47
.LBB54_67:                              ;   in Loop: Header=BB54_10 Depth=2
	s_or_b32 exec_lo, exec_lo, s46
	s_andn2_b32 s1, s44, exec_lo
	s_and_b32 s44, s47, exec_lo
	s_or_b32 s44, s1, s44
.LBB54_68:                              ;   in Loop: Header=BB54_10 Depth=2
	s_or_b32 exec_lo, exec_lo, s45
	s_and_b32 s44, s44, exec_lo
                                        ; implicit-def: $vgpr20_vgpr21
                                        ; implicit-def: $vgpr14_vgpr15
	s_andn2_saveexec_b32 s1, s2
	s_cbranch_execz .LBB54_44
.LBB54_69:                              ;   in Loop: Header=BB54_10 Depth=2
	s_mov_b32 s45, s44
	s_mov_b32 s2, exec_lo
                                        ; implicit-def: $vgpr3_vgpr4
	v_cmpx_lt_i32_e64 v9, v31
	s_cbranch_execz .LBB54_77
; %bb.70:                               ;   in Loop: Header=BB54_10 Depth=2
	s_mov_b32 s46, 0
                                        ; implicit-def: $sgpr45
                                        ; implicit-def: $sgpr48
                                        ; implicit-def: $sgpr47
	s_inst_prefetch 0x1
	s_branch .LBB54_72
	.p2align	6
.LBB54_71:                              ;   in Loop: Header=BB54_72 Depth=3
	s_or_b32 exec_lo, exec_lo, s49
	s_and_b32 s49, exec_lo, s48
	s_or_b32 s46, s49, s46
	s_andn2_b32 s45, s45, exec_lo
	s_and_b32 s49, s47, exec_lo
	s_or_b32 s45, s45, s49
	s_andn2_b32 exec_lo, exec_lo, s46
	s_cbranch_execz .LBB54_74
.LBB54_72:                              ;   Parent Loop BB54_6 Depth=1
                                        ;     Parent Loop BB54_10 Depth=2
                                        ; =>    This Inner Loop Header: Depth=3
	v_add_nc_u32_e32 v18, v13, v9
	s_or_b32 s47, s47, exec_lo
	s_or_b32 s48, s48, exec_lo
	s_mov_b32 s49, exec_lo
	v_ashrrev_i32_e32 v19, 31, v18
	v_lshlrev_b64 v[3:4], 2, v[18:19]
	v_add_co_u32 v3, vcc_lo, s20, v3
	v_add_co_ci_u32_e64 v4, null, s21, v4, vcc_lo
	global_load_dword v3, v[3:4], off
	s_waitcnt vmcnt(0)
	v_subrev_nc_u32_e32 v3, s37, v3
	v_cmpx_ne_u32_e64 v3, v14
	s_cbranch_execz .LBB54_71
; %bb.73:                               ;   in Loop: Header=BB54_72 Depth=3
	v_add_nc_u32_e32 v9, 1, v9
	s_andn2_b32 s48, s48, exec_lo
	s_andn2_b32 s47, s47, exec_lo
	v_cmp_ge_i32_e32 vcc_lo, v9, v31
	s_and_b32 s50, vcc_lo, exec_lo
	s_or_b32 s48, s48, s50
	s_branch .LBB54_71
.LBB54_74:                              ;   in Loop: Header=BB54_10 Depth=2
	s_inst_prefetch 0x2
	s_or_b32 exec_lo, exec_lo, s46
	s_mov_b32 s46, s44
                                        ; implicit-def: $vgpr3_vgpr4
	s_and_saveexec_b32 s47, s45
	s_xor_b32 s45, exec_lo, s47
	s_cbranch_execz .LBB54_76
; %bb.75:                               ;   in Loop: Header=BB54_10 Depth=2
	v_lshlrev_b64 v[3:4], 4, v[18:19]
	s_or_b32 s46, s44, exec_lo
	v_add_co_u32 v3, vcc_lo, s22, v3
	v_add_co_ci_u32_e64 v4, null, s23, v4, vcc_lo
	global_store_dwordx2 v[3:4], v[20:21], off
.LBB54_76:                              ;   in Loop: Header=BB54_10 Depth=2
	s_or_b32 exec_lo, exec_lo, s45
	s_andn2_b32 s45, s44, exec_lo
	s_and_b32 s46, s46, exec_lo
	s_or_b32 s45, s45, s46
.LBB54_77:                              ;   in Loop: Header=BB54_10 Depth=2
	s_or_b32 exec_lo, exec_lo, s2
	s_andn2_b32 s2, s44, exec_lo
	s_and_b32 s44, s45, exec_lo
	s_or_b32 s44, s2, s44
	s_or_b32 exec_lo, exec_lo, s1
	s_and_b32 exec_lo, exec_lo, s44
	s_cbranch_execz .LBB54_9
.LBB54_78:                              ;   in Loop: Header=BB54_10 Depth=2
	global_store_dwordx2 v[3:4], v[16:17], off offset:8
	s_branch .LBB54_9
.LBB54_79:
	s_or_b32 exec_lo, exec_lo, s39
.LBB54_80:
	s_or_b32 exec_lo, exec_lo, s34
.LBB54_81:
	s_or_b32 exec_lo, exec_lo, s3
	v_mbcnt_lo_u32_b32 v5, -1, 0
	v_xor_b32_e32 v1, 16, v5
	v_xor_b32_e32 v3, 8, v5
	;; [unrolled: 1-line block ×3, first 2 shown]
	v_cmp_gt_i32_e32 vcc_lo, 32, v1
	v_cmp_gt_i32_e64 s0, 32, v3
	v_cndmask_b32_e32 v1, v5, v1, vcc_lo
	v_cndmask_b32_e64 v3, v5, v3, s0
	v_cmp_gt_i32_e64 s0, 32, v6
	v_lshlrev_b32_e32 v2, 2, v1
	v_lshlrev_b32_e32 v3, 2, v3
	v_cndmask_b32_e64 v6, v5, v6, s0
	ds_bpermute_b32 v1, v2, v7
	ds_bpermute_b32 v2, v2, v8
	v_lshlrev_b32_e32 v6, 2, v6
	s_waitcnt lgkmcnt(0)
	v_cmp_lt_f64_e32 vcc_lo, v[7:8], v[1:2]
	v_cndmask_b32_e32 v2, v8, v2, vcc_lo
	v_cndmask_b32_e32 v1, v7, v1, vcc_lo
	ds_bpermute_b32 v4, v3, v2
	ds_bpermute_b32 v3, v3, v1
	s_waitcnt lgkmcnt(0)
	v_cmp_lt_f64_e32 vcc_lo, v[1:2], v[3:4]
	v_cndmask_b32_e32 v2, v2, v4, vcc_lo
	v_cndmask_b32_e32 v1, v1, v3, vcc_lo
	ds_bpermute_b32 v4, v6, v2
	ds_bpermute_b32 v3, v6, v1
	v_xor_b32_e32 v6, 2, v5
	v_cmp_gt_i32_e64 s0, 32, v6
	v_cndmask_b32_e64 v6, v5, v6, s0
	v_lshlrev_b32_e32 v6, 2, v6
	s_waitcnt lgkmcnt(0)
	v_cmp_lt_f64_e32 vcc_lo, v[1:2], v[3:4]
	v_cndmask_b32_e32 v2, v2, v4, vcc_lo
	v_cndmask_b32_e32 v1, v1, v3, vcc_lo
	ds_bpermute_b32 v4, v6, v2
	ds_bpermute_b32 v3, v6, v1
	v_xor_b32_e32 v6, 1, v5
	v_cmp_gt_i32_e64 s0, 32, v6
	v_cndmask_b32_e64 v5, v5, v6, s0
	s_mov_b32 s0, exec_lo
	v_lshlrev_b32_e32 v5, 2, v5
	s_waitcnt lgkmcnt(0)
	v_cmp_lt_f64_e32 vcc_lo, v[1:2], v[3:4]
	v_cndmask_b32_e32 v2, v2, v4, vcc_lo
	v_cndmask_b32_e32 v1, v1, v3, vcc_lo
	ds_bpermute_b32 v3, v5, v1
	ds_bpermute_b32 v5, v5, v2
	v_cmpx_eq_u32_e32 31, v29
	s_cbranch_execz .LBB54_83
; %bb.82:
	s_waitcnt lgkmcnt(0)
	v_mov_b32_e32 v4, v5
	v_cmp_lt_f64_e32 vcc_lo, v[1:2], v[3:4]
	v_lshlrev_b32_e32 v4, 3, v28
	v_cndmask_b32_e32 v2, v2, v5, vcc_lo
	v_cndmask_b32_e32 v1, v1, v3, vcc_lo
	ds_write_b64 v4, v[1:2]
.LBB54_83:
	s_or_b32 exec_lo, exec_lo, s0
	v_lshlrev_b32_e32 v1, 3, v0
	s_mov_b32 s0, exec_lo
	s_waitcnt lgkmcnt(0)
	s_waitcnt_vscnt null, 0x0
	s_barrier
	buffer_gl0_inv
	v_cmpx_gt_u32_e32 16, v0
	s_cbranch_execz .LBB54_85
; %bb.84:
	ds_read2_b64 v[2:5], v1 offset1:16
	s_waitcnt lgkmcnt(0)
	v_cmp_lt_f64_e32 vcc_lo, v[2:3], v[4:5]
	v_cndmask_b32_e32 v3, v3, v5, vcc_lo
	v_cndmask_b32_e32 v2, v2, v4, vcc_lo
	ds_write_b64 v1, v[2:3]
.LBB54_85:
	s_or_b32 exec_lo, exec_lo, s0
	s_mov_b32 s0, exec_lo
	s_waitcnt lgkmcnt(0)
	s_barrier
	buffer_gl0_inv
	v_cmpx_gt_u32_e32 8, v0
	s_cbranch_execz .LBB54_87
; %bb.86:
	ds_read2_b64 v[2:5], v1 offset1:8
	s_waitcnt lgkmcnt(0)
	v_cmp_lt_f64_e32 vcc_lo, v[2:3], v[4:5]
	v_cndmask_b32_e32 v3, v3, v5, vcc_lo
	v_cndmask_b32_e32 v2, v2, v4, vcc_lo
	ds_write_b64 v1, v[2:3]
.LBB54_87:
	s_or_b32 exec_lo, exec_lo, s0
	s_mov_b32 s0, exec_lo
	s_waitcnt lgkmcnt(0)
	;; [unrolled: 15-line block ×3, first 2 shown]
	s_barrier
	buffer_gl0_inv
	v_cmpx_gt_u32_e32 2, v0
	s_cbranch_execz .LBB54_91
; %bb.90:
	ds_read2_b64 v[2:5], v1 offset1:2
	s_waitcnt lgkmcnt(0)
	v_cmp_lt_f64_e32 vcc_lo, v[2:3], v[4:5]
	v_cndmask_b32_e32 v3, v3, v5, vcc_lo
	v_cndmask_b32_e32 v2, v2, v4, vcc_lo
	ds_write_b64 v1, v[2:3]
.LBB54_91:
	s_or_b32 exec_lo, exec_lo, s0
	v_cmp_eq_u32_e32 vcc_lo, 0, v0
	s_waitcnt lgkmcnt(0)
	s_barrier
	buffer_gl0_inv
	s_and_saveexec_b32 s1, vcc_lo
	s_cbranch_execz .LBB54_93
; %bb.92:
	v_mov_b32_e32 v4, 0
	ds_read_b128 v[0:3], v4
	s_waitcnt lgkmcnt(0)
	v_cmp_lt_f64_e64 s0, v[0:1], v[2:3]
	v_cndmask_b32_e64 v1, v1, v3, s0
	v_cndmask_b32_e64 v0, v0, v2, s0
	ds_write_b64 v4, v[0:1]
.LBB54_93:
	s_or_b32 exec_lo, exec_lo, s1
	s_waitcnt lgkmcnt(0)
	s_barrier
	buffer_gl0_inv
	s_and_saveexec_b32 s0, vcc_lo
	s_cbranch_execz .LBB54_97
; %bb.94:
	v_mbcnt_lo_u32_b32 v0, exec_lo, 0
	s_mov_b32 s6, 0
	v_cmp_eq_u32_e32 vcc_lo, 0, v0
	s_and_b32 exec_lo, exec_lo, vcc_lo
	s_cbranch_execz .LBB54_97
; %bb.95:
	s_load_dwordx4 s[0:3], s[4:5], 0x88
	v_mov_b32_e32 v6, 0
	s_waitcnt lgkmcnt(0)
	s_clause 0x1
	global_load_dwordx2 v[0:1], v6, s[2:3]
	global_load_dwordx2 v[2:3], v6, s[0:1]
	ds_read_b64 v[4:5], v6
	s_waitcnt vmcnt(1) lgkmcnt(0)
	v_div_scale_f64 v[7:8], null, v[0:1], v[0:1], v[4:5]
	v_rcp_f64_e32 v[9:10], v[7:8]
	v_fma_f64 v[11:12], -v[7:8], v[9:10], 1.0
	v_fma_f64 v[9:10], v[9:10], v[11:12], v[9:10]
	v_fma_f64 v[11:12], -v[7:8], v[9:10], 1.0
	v_fma_f64 v[9:10], v[9:10], v[11:12], v[9:10]
	v_div_scale_f64 v[11:12], vcc_lo, v[4:5], v[0:1], v[4:5]
	v_mul_f64 v[13:14], v[11:12], v[9:10]
	v_fma_f64 v[7:8], -v[7:8], v[13:14], v[11:12]
	v_div_fmas_f64 v[7:8], v[7:8], v[9:10], v[13:14]
	v_div_fixup_f64 v[0:1], v[7:8], v[0:1], v[4:5]
	v_max_f64 v[4:5], v[0:1], v[0:1]
.LBB54_96:                              ; =>This Inner Loop Header: Depth=1
	s_waitcnt vmcnt(0)
	v_max_f64 v[0:1], v[2:3], v[2:3]
	v_max_f64 v[0:1], v[0:1], v[4:5]
	global_atomic_cmpswap_x2 v[0:1], v6, v[0:3], s[0:1] glc
	s_waitcnt vmcnt(0)
	v_cmp_eq_u64_e32 vcc_lo, v[0:1], v[2:3]
	v_mov_b32_e32 v3, v1
	v_mov_b32_e32 v2, v0
	s_or_b32 s6, vcc_lo, s6
	s_andn2_b32 exec_lo, exec_lo, s6
	s_cbranch_execnz .LBB54_96
.LBB54_97:
	s_endpgm
	.section	.rodata,"a",@progbits
	.p2align	6, 0x0
	.amdhsa_kernel _ZN9rocsparseL17kernel_correctionILi1024ELi32E21rocsparse_complex_numIdEiiEEvT3_T2_PKS4_S6_PKS3_PKT1_21rocsparse_index_base_S6_S6_S8_PS9_SC_S6_S6_S8_SD_SC_SD_PNS_15floating_traitsIS9_E6data_tEPKSG_
		.amdhsa_group_segment_fixed_size 256
		.amdhsa_private_segment_fixed_size 0
		.amdhsa_kernarg_size 152
		.amdhsa_user_sgpr_count 6
		.amdhsa_user_sgpr_private_segment_buffer 1
		.amdhsa_user_sgpr_dispatch_ptr 0
		.amdhsa_user_sgpr_queue_ptr 0
		.amdhsa_user_sgpr_kernarg_segment_ptr 1
		.amdhsa_user_sgpr_dispatch_id 0
		.amdhsa_user_sgpr_flat_scratch_init 0
		.amdhsa_user_sgpr_private_segment_size 0
		.amdhsa_wavefront_size32 1
		.amdhsa_uses_dynamic_stack 0
		.amdhsa_system_sgpr_private_segment_wavefront_offset 0
		.amdhsa_system_sgpr_workgroup_id_x 1
		.amdhsa_system_sgpr_workgroup_id_y 0
		.amdhsa_system_sgpr_workgroup_id_z 0
		.amdhsa_system_sgpr_workgroup_info 0
		.amdhsa_system_vgpr_workitem_id 0
		.amdhsa_next_free_vgpr 49
		.amdhsa_next_free_sgpr 52
		.amdhsa_reserve_vcc 1
		.amdhsa_reserve_flat_scratch 0
		.amdhsa_float_round_mode_32 0
		.amdhsa_float_round_mode_16_64 0
		.amdhsa_float_denorm_mode_32 3
		.amdhsa_float_denorm_mode_16_64 3
		.amdhsa_dx10_clamp 1
		.amdhsa_ieee_mode 1
		.amdhsa_fp16_overflow 0
		.amdhsa_workgroup_processor_mode 1
		.amdhsa_memory_ordered 1
		.amdhsa_forward_progress 1
		.amdhsa_shared_vgpr_count 0
		.amdhsa_exception_fp_ieee_invalid_op 0
		.amdhsa_exception_fp_denorm_src 0
		.amdhsa_exception_fp_ieee_div_zero 0
		.amdhsa_exception_fp_ieee_overflow 0
		.amdhsa_exception_fp_ieee_underflow 0
		.amdhsa_exception_fp_ieee_inexact 0
		.amdhsa_exception_int_div_zero 0
	.end_amdhsa_kernel
	.section	.text._ZN9rocsparseL17kernel_correctionILi1024ELi32E21rocsparse_complex_numIdEiiEEvT3_T2_PKS4_S6_PKS3_PKT1_21rocsparse_index_base_S6_S6_S8_PS9_SC_S6_S6_S8_SD_SC_SD_PNS_15floating_traitsIS9_E6data_tEPKSG_,"axG",@progbits,_ZN9rocsparseL17kernel_correctionILi1024ELi32E21rocsparse_complex_numIdEiiEEvT3_T2_PKS4_S6_PKS3_PKT1_21rocsparse_index_base_S6_S6_S8_PS9_SC_S6_S6_S8_SD_SC_SD_PNS_15floating_traitsIS9_E6data_tEPKSG_,comdat
.Lfunc_end54:
	.size	_ZN9rocsparseL17kernel_correctionILi1024ELi32E21rocsparse_complex_numIdEiiEEvT3_T2_PKS4_S6_PKS3_PKT1_21rocsparse_index_base_S6_S6_S8_PS9_SC_S6_S6_S8_SD_SC_SD_PNS_15floating_traitsIS9_E6data_tEPKSG_, .Lfunc_end54-_ZN9rocsparseL17kernel_correctionILi1024ELi32E21rocsparse_complex_numIdEiiEEvT3_T2_PKS4_S6_PKS3_PKT1_21rocsparse_index_base_S6_S6_S8_PS9_SC_S6_S6_S8_SD_SC_SD_PNS_15floating_traitsIS9_E6data_tEPKSG_
                                        ; -- End function
	.set _ZN9rocsparseL17kernel_correctionILi1024ELi32E21rocsparse_complex_numIdEiiEEvT3_T2_PKS4_S6_PKS3_PKT1_21rocsparse_index_base_S6_S6_S8_PS9_SC_S6_S6_S8_SD_SC_SD_PNS_15floating_traitsIS9_E6data_tEPKSG_.num_vgpr, 49
	.set _ZN9rocsparseL17kernel_correctionILi1024ELi32E21rocsparse_complex_numIdEiiEEvT3_T2_PKS4_S6_PKS3_PKT1_21rocsparse_index_base_S6_S6_S8_PS9_SC_S6_S6_S8_SD_SC_SD_PNS_15floating_traitsIS9_E6data_tEPKSG_.num_agpr, 0
	.set _ZN9rocsparseL17kernel_correctionILi1024ELi32E21rocsparse_complex_numIdEiiEEvT3_T2_PKS4_S6_PKS3_PKT1_21rocsparse_index_base_S6_S6_S8_PS9_SC_S6_S6_S8_SD_SC_SD_PNS_15floating_traitsIS9_E6data_tEPKSG_.numbered_sgpr, 52
	.set _ZN9rocsparseL17kernel_correctionILi1024ELi32E21rocsparse_complex_numIdEiiEEvT3_T2_PKS4_S6_PKS3_PKT1_21rocsparse_index_base_S6_S6_S8_PS9_SC_S6_S6_S8_SD_SC_SD_PNS_15floating_traitsIS9_E6data_tEPKSG_.num_named_barrier, 0
	.set _ZN9rocsparseL17kernel_correctionILi1024ELi32E21rocsparse_complex_numIdEiiEEvT3_T2_PKS4_S6_PKS3_PKT1_21rocsparse_index_base_S6_S6_S8_PS9_SC_S6_S6_S8_SD_SC_SD_PNS_15floating_traitsIS9_E6data_tEPKSG_.private_seg_size, 0
	.set _ZN9rocsparseL17kernel_correctionILi1024ELi32E21rocsparse_complex_numIdEiiEEvT3_T2_PKS4_S6_PKS3_PKT1_21rocsparse_index_base_S6_S6_S8_PS9_SC_S6_S6_S8_SD_SC_SD_PNS_15floating_traitsIS9_E6data_tEPKSG_.uses_vcc, 1
	.set _ZN9rocsparseL17kernel_correctionILi1024ELi32E21rocsparse_complex_numIdEiiEEvT3_T2_PKS4_S6_PKS3_PKT1_21rocsparse_index_base_S6_S6_S8_PS9_SC_S6_S6_S8_SD_SC_SD_PNS_15floating_traitsIS9_E6data_tEPKSG_.uses_flat_scratch, 0
	.set _ZN9rocsparseL17kernel_correctionILi1024ELi32E21rocsparse_complex_numIdEiiEEvT3_T2_PKS4_S6_PKS3_PKT1_21rocsparse_index_base_S6_S6_S8_PS9_SC_S6_S6_S8_SD_SC_SD_PNS_15floating_traitsIS9_E6data_tEPKSG_.has_dyn_sized_stack, 0
	.set _ZN9rocsparseL17kernel_correctionILi1024ELi32E21rocsparse_complex_numIdEiiEEvT3_T2_PKS4_S6_PKS3_PKT1_21rocsparse_index_base_S6_S6_S8_PS9_SC_S6_S6_S8_SD_SC_SD_PNS_15floating_traitsIS9_E6data_tEPKSG_.has_recursion, 0
	.set _ZN9rocsparseL17kernel_correctionILi1024ELi32E21rocsparse_complex_numIdEiiEEvT3_T2_PKS4_S6_PKS3_PKT1_21rocsparse_index_base_S6_S6_S8_PS9_SC_S6_S6_S8_SD_SC_SD_PNS_15floating_traitsIS9_E6data_tEPKSG_.has_indirect_call, 0
	.section	.AMDGPU.csdata,"",@progbits
; Kernel info:
; codeLenInByte = 4876
; TotalNumSgprs: 54
; NumVgprs: 49
; ScratchSize: 0
; MemoryBound: 1
; FloatMode: 240
; IeeeMode: 1
; LDSByteSize: 256 bytes/workgroup (compile time only)
; SGPRBlocks: 0
; VGPRBlocks: 6
; NumSGPRsForWavesPerEU: 54
; NumVGPRsForWavesPerEU: 49
; Occupancy: 16
; WaveLimiterHint : 1
; COMPUTE_PGM_RSRC2:SCRATCH_EN: 0
; COMPUTE_PGM_RSRC2:USER_SGPR: 6
; COMPUTE_PGM_RSRC2:TRAP_HANDLER: 0
; COMPUTE_PGM_RSRC2:TGID_X_EN: 1
; COMPUTE_PGM_RSRC2:TGID_Y_EN: 0
; COMPUTE_PGM_RSRC2:TGID_Z_EN: 0
; COMPUTE_PGM_RSRC2:TIDIG_COMP_CNT: 0
	.section	.text._ZN9rocsparseL17kernel_correctionILi1024ELi64E21rocsparse_complex_numIdEiiEEvT3_T2_PKS4_S6_PKS3_PKT1_21rocsparse_index_base_S6_S6_S8_PS9_SC_S6_S6_S8_SD_SC_SD_PNS_15floating_traitsIS9_E6data_tEPKSG_,"axG",@progbits,_ZN9rocsparseL17kernel_correctionILi1024ELi64E21rocsparse_complex_numIdEiiEEvT3_T2_PKS4_S6_PKS3_PKT1_21rocsparse_index_base_S6_S6_S8_PS9_SC_S6_S6_S8_SD_SC_SD_PNS_15floating_traitsIS9_E6data_tEPKSG_,comdat
	.globl	_ZN9rocsparseL17kernel_correctionILi1024ELi64E21rocsparse_complex_numIdEiiEEvT3_T2_PKS4_S6_PKS3_PKT1_21rocsparse_index_base_S6_S6_S8_PS9_SC_S6_S6_S8_SD_SC_SD_PNS_15floating_traitsIS9_E6data_tEPKSG_ ; -- Begin function _ZN9rocsparseL17kernel_correctionILi1024ELi64E21rocsparse_complex_numIdEiiEEvT3_T2_PKS4_S6_PKS3_PKT1_21rocsparse_index_base_S6_S6_S8_PS9_SC_S6_S6_S8_SD_SC_SD_PNS_15floating_traitsIS9_E6data_tEPKSG_
	.p2align	8
	.type	_ZN9rocsparseL17kernel_correctionILi1024ELi64E21rocsparse_complex_numIdEiiEEvT3_T2_PKS4_S6_PKS3_PKT1_21rocsparse_index_base_S6_S6_S8_PS9_SC_S6_S6_S8_SD_SC_SD_PNS_15floating_traitsIS9_E6data_tEPKSG_,@function
_ZN9rocsparseL17kernel_correctionILi1024ELi64E21rocsparse_complex_numIdEiiEEvT3_T2_PKS4_S6_PKS3_PKT1_21rocsparse_index_base_S6_S6_S8_PS9_SC_S6_S6_S8_SD_SC_SD_PNS_15floating_traitsIS9_E6data_tEPKSG_: ; @_ZN9rocsparseL17kernel_correctionILi1024ELi64E21rocsparse_complex_numIdEiiEEvT3_T2_PKS4_S6_PKS3_PKT1_21rocsparse_index_base_S6_S6_S8_PS9_SC_S6_S6_S8_SD_SC_SD_PNS_15floating_traitsIS9_E6data_tEPKSG_
; %bb.0:
	s_load_dword s33, s[4:5], 0x0
	v_lshrrev_b32_e32 v28, 6, v0
	s_lshl_b32 s35, s6, 10
	v_mov_b32_e32 v7, 0
	v_and_b32_e32 v29, 63, v0
	v_mov_b32_e32 v8, 0
	v_or_b32_e32 v5, s35, v28
	s_mov_b32 s3, exec_lo
	s_waitcnt lgkmcnt(0)
	v_cmpx_gt_i32_e64 s33, v5
	s_cbranch_execz .LBB55_81
; %bb.1:
	v_mov_b32_e32 v7, 0
	v_mov_b32_e32 v8, 0
	s_addk_i32 s35, 0x400
	s_mov_b32 s34, exec_lo
	v_cmpx_gt_u32_e64 s35, v5
	s_cbranch_execz .LBB55_80
; %bb.2:
	s_clause 0x6
	s_load_dword s36, s[4:5], 0x28
	s_load_dwordx8 s[8:15], s[4:5], 0x58
	s_load_dwordx8 s[16:23], s[4:5], 0x30
	;; [unrolled: 1-line block ×3, first 2 shown]
	s_load_dword s37, s[4:5], 0x50
	s_load_dwordx2 s[6:7], s[4:5], 0x80
	s_load_dword s38, s[4:5], 0x78
	v_mov_b32_e32 v7, 0
	v_mov_b32_e32 v8, 0
	;; [unrolled: 1-line block ×3, first 2 shown]
	s_mov_b32 s39, 0
	s_waitcnt lgkmcnt(0)
	v_subrev_nc_u32_e32 v30, s36, v29
	s_branch .LBB55_6
.LBB55_3:                               ;   in Loop: Header=BB55_6 Depth=1
	s_or_b32 exec_lo, exec_lo, s42
.LBB55_4:                               ;   in Loop: Header=BB55_6 Depth=1
	s_or_b32 exec_lo, exec_lo, s41
.LBB55_5:                               ;   in Loop: Header=BB55_6 Depth=1
	s_or_b32 exec_lo, exec_lo, s40
	v_add_nc_u32_e32 v5, 16, v5
	v_cmp_le_u32_e32 vcc_lo, s35, v5
	s_or_b32 s39, vcc_lo, s39
	s_andn2_b32 exec_lo, exec_lo, s39
	s_cbranch_execz .LBB55_79
.LBB55_6:                               ; =>This Loop Header: Depth=1
                                        ;     Child Loop BB55_10 Depth 2
                                        ;       Child Loop BB55_14 Depth 3
                                        ;       Child Loop BB55_36 Depth 3
	;; [unrolled: 1-line block ×5, first 2 shown]
	s_mov_b32 s40, exec_lo
	v_cmpx_gt_i32_e64 s33, v5
	s_cbranch_execz .LBB55_5
; %bb.7:                                ;   in Loop: Header=BB55_6 Depth=1
	v_ashrrev_i32_e32 v6, 31, v5
	s_mov_b32 s41, exec_lo
	v_lshlrev_b64 v[1:2], 2, v[5:6]
	v_add_co_u32 v3, vcc_lo, s24, v1
	v_add_co_ci_u32_e64 v4, null, s25, v2, vcc_lo
	v_add_co_u32 v11, vcc_lo, s26, v1
	v_add_co_ci_u32_e64 v12, null, s27, v2, vcc_lo
	global_load_dword v3, v[3:4], off
	global_load_dword v4, v[11:12], off
	s_waitcnt vmcnt(1)
	v_add_nc_u32_e32 v11, v30, v3
	s_waitcnt vmcnt(0)
	v_subrev_nc_u32_e32 v6, s36, v4
	v_cmpx_lt_i32_e64 v11, v6
	s_cbranch_execz .LBB55_4
; %bb.8:                                ;   in Loop: Header=BB55_6 Depth=1
	v_add_co_u32 v3, vcc_lo, s16, v1
	v_add_co_ci_u32_e64 v4, null, s17, v2, vcc_lo
	v_add_co_u32 v1, vcc_lo, s18, v1
	v_add_co_ci_u32_e64 v2, null, s19, v2, vcc_lo
	global_load_dword v3, v[3:4], off
	s_mov_b32 s42, 0
	global_load_dword v4, v[1:2], off
	s_waitcnt vmcnt(1)
	v_subrev_nc_u32_e32 v13, s37, v3
	s_waitcnt vmcnt(0)
	v_sub_nc_u32_e32 v31, v4, v3
	v_ashrrev_i32_e32 v14, 31, v13
	v_cmp_lt_i32_e64 s0, 0, v31
	v_lshlrev_b64 v[1:2], 2, v[13:14]
	v_lshlrev_b64 v[3:4], 4, v[13:14]
	v_add_co_u32 v32, vcc_lo, s20, v1
	v_add_co_ci_u32_e64 v33, null, s21, v2, vcc_lo
	v_add_co_u32 v34, vcc_lo, s22, v3
	v_add_co_ci_u32_e64 v35, null, s23, v4, vcc_lo
	s_branch .LBB55_10
.LBB55_9:                               ;   in Loop: Header=BB55_10 Depth=2
	s_or_b32 exec_lo, exec_lo, s43
	v_cmp_nlg_f64_e64 s2, 0x7ff00000, |v[1:2]|
	v_cmp_gt_f64_e32 vcc_lo, v[7:8], v[1:2]
	v_add_nc_u32_e32 v11, 64, v11
	v_cmp_ge_i32_e64 s1, v11, v6
	s_or_b32 vcc_lo, s2, vcc_lo
	s_or_b32 s42, s1, s42
	v_cndmask_b32_e32 v8, v2, v8, vcc_lo
	v_cndmask_b32_e32 v7, v1, v7, vcc_lo
	s_andn2_b32 exec_lo, exec_lo, s42
	s_cbranch_execz .LBB55_3
.LBB55_10:                              ;   Parent Loop BB55_6 Depth=1
                                        ; =>  This Loop Header: Depth=2
                                        ;       Child Loop BB55_14 Depth 3
                                        ;       Child Loop BB55_36 Depth 3
	;; [unrolled: 1-line block ×5, first 2 shown]
	v_ashrrev_i32_e32 v12, 31, v11
	v_mov_b32_e32 v9, 0
	v_mov_b32_e32 v22, 0
	v_mov_b32_e32 v24, 0
	v_mov_b32_e32 v23, 0
	v_lshlrev_b64 v[1:2], 2, v[11:12]
	v_mov_b32_e32 v25, 0
	v_mov_b32_e32 v19, v9
	v_add_co_u32 v1, vcc_lo, s28, v1
	v_add_co_ci_u32_e64 v2, null, s29, v2, vcc_lo
	global_load_dword v1, v[1:2], off
	s_waitcnt vmcnt(0)
	v_subrev_nc_u32_e32 v14, s36, v1
	v_ashrrev_i32_e32 v15, 31, v14
	v_lshlrev_b64 v[1:2], 2, v[14:15]
	v_add_co_u32 v3, vcc_lo, s8, v1
	v_add_co_ci_u32_e64 v4, null, s9, v2, vcc_lo
	v_add_co_u32 v1, vcc_lo, s10, v1
	v_add_co_ci_u32_e64 v2, null, s11, v2, vcc_lo
	global_load_dword v3, v[3:4], off
	global_load_dword v1, v[1:2], off
	s_waitcnt vmcnt(1)
	v_subrev_nc_u32_e32 v18, s38, v3
	s_waitcnt vmcnt(0)
	v_sub_nc_u32_e32 v36, v1, v3
	s_and_saveexec_b32 s2, s0
	s_cbranch_execz .LBB55_18
; %bb.11:                               ;   in Loop: Header=BB55_10 Depth=2
	v_ashrrev_i32_e32 v19, 31, v18
	v_mov_b32_e32 v22, 0
	v_mov_b32_e32 v24, 0
	;; [unrolled: 1-line block ×4, first 2 shown]
	v_lshlrev_b64 v[1:2], 2, v[18:19]
	v_lshlrev_b64 v[3:4], 4, v[18:19]
	v_mov_b32_e32 v19, 0
	v_mov_b32_e32 v9, 0
	s_mov_b32 s43, 0
                                        ; implicit-def: $sgpr44
	v_add_co_u32 v1, vcc_lo, s12, v1
	v_add_co_ci_u32_e64 v2, null, s13, v2, vcc_lo
	v_add_co_u32 v3, vcc_lo, s14, v3
	v_add_co_ci_u32_e64 v4, null, s15, v4, vcc_lo
	s_branch .LBB55_14
.LBB55_12:                              ;   in Loop: Header=BB55_14 Depth=3
	s_or_b32 exec_lo, exec_lo, s1
	v_cmp_le_i32_e32 vcc_lo, v16, v17
	v_cmp_ge_i32_e64 s1, v16, v17
	v_add_co_ci_u32_e64 v9, null, 0, v9, vcc_lo
	v_add_co_ci_u32_e64 v19, null, 0, v19, s1
	s_andn2_b32 s1, s44, exec_lo
	v_cmp_ge_i32_e32 vcc_lo, v9, v31
	s_and_b32 s44, vcc_lo, exec_lo
	s_or_b32 s44, s1, s44
.LBB55_13:                              ;   in Loop: Header=BB55_14 Depth=3
	s_or_b32 exec_lo, exec_lo, s45
	s_and_b32 s1, exec_lo, s44
	s_or_b32 s43, s1, s43
	s_andn2_b32 exec_lo, exec_lo, s43
	s_cbranch_execz .LBB55_17
.LBB55_14:                              ;   Parent Loop BB55_6 Depth=1
                                        ;     Parent Loop BB55_10 Depth=2
                                        ; =>    This Inner Loop Header: Depth=3
	s_or_b32 s44, s44, exec_lo
	s_mov_b32 s45, exec_lo
	v_cmpx_lt_i32_e64 v19, v36
	s_cbranch_execz .LBB55_13
; %bb.15:                               ;   in Loop: Header=BB55_14 Depth=3
	v_mov_b32_e32 v20, v10
	v_lshlrev_b64 v[16:17], 2, v[9:10]
	s_mov_b32 s1, exec_lo
	v_lshlrev_b64 v[26:27], 2, v[19:20]
	v_add_co_u32 v16, vcc_lo, v32, v16
	v_add_co_ci_u32_e64 v17, null, v33, v17, vcc_lo
	v_add_co_u32 v26, vcc_lo, v1, v26
	v_add_co_ci_u32_e64 v27, null, v2, v27, vcc_lo
	global_load_dword v16, v[16:17], off
	global_load_dword v17, v[26:27], off
	s_waitcnt vmcnt(1)
	v_subrev_nc_u32_e32 v16, s37, v16
	s_waitcnt vmcnt(0)
	v_subrev_nc_u32_e32 v17, s38, v17
	v_cmpx_eq_u32_e64 v16, v17
	s_cbranch_execz .LBB55_12
; %bb.16:                               ;   in Loop: Header=BB55_14 Depth=3
	v_lshlrev_b64 v[26:27], 4, v[9:10]
	v_lshlrev_b64 v[20:21], 4, v[19:20]
	v_add_co_u32 v26, vcc_lo, v34, v26
	v_add_co_ci_u32_e64 v27, null, v35, v27, vcc_lo
	v_add_co_u32 v20, vcc_lo, v3, v20
	v_add_co_ci_u32_e64 v21, null, v4, v21, vcc_lo
	global_load_dwordx4 v[37:40], v[26:27], off
	global_load_dwordx4 v[41:44], v[20:21], off
	s_waitcnt vmcnt(0)
	v_fma_f64 v[20:21], v[37:38], v[41:42], v[22:23]
	v_fma_f64 v[24:25], v[39:40], v[41:42], v[24:25]
	v_fma_f64 v[22:23], -v[39:40], v[43:44], v[20:21]
	v_fma_f64 v[24:25], v[37:38], v[43:44], v[24:25]
	s_branch .LBB55_12
.LBB55_17:                              ;   in Loop: Header=BB55_10 Depth=2
	s_or_b32 exec_lo, exec_lo, s43
.LBB55_18:                              ;   in Loop: Header=BB55_10 Depth=2
	s_or_b32 exec_lo, exec_lo, s2
	v_lshlrev_b64 v[1:2], 4, v[11:12]
	v_cmp_le_i32_e64 s2, v5, v14
	s_mov_b32 s1, exec_lo
	v_add_co_u32 v1, vcc_lo, s30, v1
	v_add_co_ci_u32_e64 v2, null, s31, v2, vcc_lo
	global_load_dwordx4 v[1:4], v[1:2], off
	s_waitcnt vmcnt(0)
	v_add_f64 v[20:21], v[1:2], -v[22:23]
	v_add_f64 v[16:17], v[3:4], -v[24:25]
	v_cmpx_gt_i32_e64 v5, v14
	s_cbranch_execz .LBB55_20
; %bb.19:                               ;   in Loop: Header=BB55_10 Depth=2
	v_lshlrev_b64 v[26:27], 4, v[14:15]
	v_add_co_u32 v26, vcc_lo, s6, v26
	v_add_co_ci_u32_e64 v27, null, s7, v27, vcc_lo
	global_load_dwordx4 v[37:40], v[26:27], off
	s_waitcnt vmcnt(0)
	v_mul_f64 v[26:27], v[39:40], v[39:40]
	v_fma_f64 v[26:27], v[37:38], v[37:38], v[26:27]
	v_div_scale_f64 v[41:42], null, v[26:27], v[26:27], 1.0
	v_div_scale_f64 v[47:48], vcc_lo, 1.0, v[26:27], 1.0
	v_rcp_f64_e32 v[43:44], v[41:42]
	v_fma_f64 v[45:46], -v[41:42], v[43:44], 1.0
	v_fma_f64 v[43:44], v[43:44], v[45:46], v[43:44]
	v_fma_f64 v[45:46], -v[41:42], v[43:44], 1.0
	v_fma_f64 v[43:44], v[43:44], v[45:46], v[43:44]
	v_mul_f64 v[45:46], v[47:48], v[43:44]
	v_fma_f64 v[41:42], -v[41:42], v[45:46], v[47:48]
	v_div_fmas_f64 v[41:42], v[41:42], v[43:44], v[45:46]
	v_mul_f64 v[43:44], v[16:17], v[39:40]
	v_mul_f64 v[39:40], v[39:40], -v[20:21]
	v_div_fixup_f64 v[26:27], v[41:42], v[26:27], 1.0
	v_fma_f64 v[20:21], v[20:21], v[37:38], v[43:44]
	v_fma_f64 v[16:17], v[16:17], v[37:38], v[39:40]
	v_mul_f64 v[20:21], v[20:21], v[26:27]
	v_mul_f64 v[16:17], v[16:17], v[26:27]
.LBB55_20:                              ;   in Loop: Header=BB55_10 Depth=2
	s_or_b32 exec_lo, exec_lo, s1
	v_cmp_lt_i32_e64 s1, v19, v36
	s_mov_b32 s43, exec_lo
	v_cmpx_ge_i32_e64 v19, v36
	s_xor_b32 s43, exec_lo, s43
	s_cbranch_execnz .LBB55_33
; %bb.21:                               ;   in Loop: Header=BB55_10 Depth=2
	s_andn2_saveexec_b32 s43, s43
	s_cbranch_execnz .LBB55_49
.LBB55_22:                              ;   in Loop: Header=BB55_10 Depth=2
	s_or_b32 exec_lo, exec_lo, s43
	s_mov_b32 s43, exec_lo
	v_cmpx_eq_u32_e64 v5, v14
	s_cbranch_execz .LBB55_24
.LBB55_23:                              ;   in Loop: Header=BB55_10 Depth=2
	v_lshlrev_b64 v[26:27], 4, v[14:15]
	v_add_co_u32 v26, vcc_lo, s6, v26
	v_add_co_ci_u32_e64 v27, null, s7, v27, vcc_lo
	global_load_dwordx4 v[37:40], v[26:27], off
	s_waitcnt vmcnt(0)
	v_add_f64 v[22:23], v[22:23], v[37:38]
	v_add_f64 v[24:25], v[24:25], v[39:40]
.LBB55_24:                              ;   in Loop: Header=BB55_10 Depth=2
	s_or_b32 exec_lo, exec_lo, s43
	v_add_f64 v[22:23], v[1:2], -v[22:23]
	v_add_f64 v[24:25], v[3:4], -v[24:25]
	s_mov_b32 s43, exec_lo
	v_cmp_gt_f64_e32 vcc_lo, 0, v[22:23]
	v_xor_b32_e32 v1, 0x80000000, v23
	v_xor_b32_e32 v2, 0x80000000, v25
	v_mov_b32_e32 v3, v24
	v_cndmask_b32_e32 v23, v23, v1, vcc_lo
	v_cmp_gt_f64_e32 vcc_lo, 0, v[24:25]
	v_cndmask_b32_e32 v4, v25, v2, vcc_lo
                                        ; implicit-def: $vgpr1_vgpr2
	v_cmpx_ngt_f64_e32 v[22:23], v[3:4]
	s_xor_b32 s43, exec_lo, s43
	s_cbranch_execz .LBB55_28
; %bb.25:                               ;   in Loop: Header=BB55_10 Depth=2
	v_mov_b32_e32 v1, 0
	v_mov_b32_e32 v2, 0
	s_mov_b32 s44, exec_lo
	v_cmpx_neq_f64_e32 0, v[24:25]
	s_cbranch_execz .LBB55_27
; %bb.26:                               ;   in Loop: Header=BB55_10 Depth=2
	v_div_scale_f64 v[1:2], null, v[3:4], v[3:4], v[22:23]
	v_div_scale_f64 v[37:38], vcc_lo, v[22:23], v[3:4], v[22:23]
	v_rcp_f64_e32 v[24:25], v[1:2]
	v_fma_f64 v[26:27], -v[1:2], v[24:25], 1.0
	v_fma_f64 v[24:25], v[24:25], v[26:27], v[24:25]
	v_fma_f64 v[26:27], -v[1:2], v[24:25], 1.0
	v_fma_f64 v[24:25], v[24:25], v[26:27], v[24:25]
	v_mul_f64 v[26:27], v[37:38], v[24:25]
	v_fma_f64 v[1:2], -v[1:2], v[26:27], v[37:38]
	v_div_fmas_f64 v[1:2], v[1:2], v[24:25], v[26:27]
	v_div_fixup_f64 v[1:2], v[1:2], v[3:4], v[22:23]
	v_fma_f64 v[1:2], v[1:2], v[1:2], 1.0
	v_cmp_gt_f64_e32 vcc_lo, 0x10000000, v[1:2]
	v_cndmask_b32_e64 v12, 0, 0x100, vcc_lo
	v_ldexp_f64 v[1:2], v[1:2], v12
	v_cndmask_b32_e64 v12, 0, 0xffffff80, vcc_lo
	v_rsq_f64_e32 v[22:23], v[1:2]
	v_cmp_class_f64_e64 vcc_lo, v[1:2], 0x260
	v_mul_f64 v[24:25], v[1:2], v[22:23]
	v_mul_f64 v[22:23], v[22:23], 0.5
	v_fma_f64 v[26:27], -v[22:23], v[24:25], 0.5
	v_fma_f64 v[24:25], v[24:25], v[26:27], v[24:25]
	v_fma_f64 v[22:23], v[22:23], v[26:27], v[22:23]
	v_fma_f64 v[26:27], -v[24:25], v[24:25], v[1:2]
	v_fma_f64 v[24:25], v[26:27], v[22:23], v[24:25]
	v_fma_f64 v[26:27], -v[24:25], v[24:25], v[1:2]
	v_fma_f64 v[22:23], v[26:27], v[22:23], v[24:25]
	v_ldexp_f64 v[22:23], v[22:23], v12
	v_cndmask_b32_e32 v2, v23, v2, vcc_lo
	v_cndmask_b32_e32 v1, v22, v1, vcc_lo
	v_mul_f64 v[1:2], v[3:4], v[1:2]
.LBB55_27:                              ;   in Loop: Header=BB55_10 Depth=2
	s_or_b32 exec_lo, exec_lo, s44
                                        ; implicit-def: $vgpr22_vgpr23
                                        ; implicit-def: $vgpr3_vgpr4
.LBB55_28:                              ;   in Loop: Header=BB55_10 Depth=2
	s_andn2_saveexec_b32 s43, s43
	s_cbranch_execz .LBB55_30
; %bb.29:                               ;   in Loop: Header=BB55_10 Depth=2
	v_div_scale_f64 v[1:2], null, v[22:23], v[22:23], v[3:4]
	v_div_scale_f64 v[37:38], vcc_lo, v[3:4], v[22:23], v[3:4]
	v_rcp_f64_e32 v[24:25], v[1:2]
	v_fma_f64 v[26:27], -v[1:2], v[24:25], 1.0
	v_fma_f64 v[24:25], v[24:25], v[26:27], v[24:25]
	v_fma_f64 v[26:27], -v[1:2], v[24:25], 1.0
	v_fma_f64 v[24:25], v[24:25], v[26:27], v[24:25]
	v_mul_f64 v[26:27], v[37:38], v[24:25]
	v_fma_f64 v[1:2], -v[1:2], v[26:27], v[37:38]
	v_div_fmas_f64 v[1:2], v[1:2], v[24:25], v[26:27]
	v_div_fixup_f64 v[1:2], v[1:2], v[22:23], v[3:4]
	v_fma_f64 v[1:2], v[1:2], v[1:2], 1.0
	v_cmp_gt_f64_e32 vcc_lo, 0x10000000, v[1:2]
	v_cndmask_b32_e64 v3, 0, 0x100, vcc_lo
	v_cndmask_b32_e64 v12, 0, 0xffffff80, vcc_lo
	v_ldexp_f64 v[1:2], v[1:2], v3
	v_rsq_f64_e32 v[3:4], v[1:2]
	v_cmp_class_f64_e64 vcc_lo, v[1:2], 0x260
	v_mul_f64 v[24:25], v[1:2], v[3:4]
	v_mul_f64 v[3:4], v[3:4], 0.5
	v_fma_f64 v[26:27], -v[3:4], v[24:25], 0.5
	v_fma_f64 v[24:25], v[24:25], v[26:27], v[24:25]
	v_fma_f64 v[3:4], v[3:4], v[26:27], v[3:4]
	v_fma_f64 v[26:27], -v[24:25], v[24:25], v[1:2]
	v_fma_f64 v[24:25], v[26:27], v[3:4], v[24:25]
	v_fma_f64 v[26:27], -v[24:25], v[24:25], v[1:2]
	v_fma_f64 v[3:4], v[26:27], v[3:4], v[24:25]
	v_ldexp_f64 v[3:4], v[3:4], v12
	v_cndmask_b32_e32 v2, v4, v2, vcc_lo
	v_cndmask_b32_e32 v1, v3, v1, vcc_lo
	v_mul_f64 v[1:2], v[22:23], v[1:2]
.LBB55_30:                              ;   in Loop: Header=BB55_10 Depth=2
	s_or_b32 exec_lo, exec_lo, s43
	v_cmp_gt_f64_e32 vcc_lo, 0, v[20:21]
	v_xor_b32_e32 v4, 0x80000000, v21
	v_xor_b32_e32 v12, 0x80000000, v17
	v_mov_b32_e32 v3, v20
	v_mov_b32_e32 v22, v16
	s_mov_b32 s43, exec_lo
                                        ; implicit-def: $vgpr24_vgpr25
	v_cndmask_b32_e32 v4, v21, v4, vcc_lo
	v_cmp_gt_f64_e32 vcc_lo, 0, v[16:17]
	v_cndmask_b32_e32 v23, v17, v12, vcc_lo
	v_cmpx_ngt_f64_e32 v[3:4], v[22:23]
	s_xor_b32 s43, exec_lo, s43
	s_cbranch_execnz .LBB55_38
; %bb.31:                               ;   in Loop: Header=BB55_10 Depth=2
	s_andn2_saveexec_b32 s43, s43
	s_cbranch_execnz .LBB55_41
.LBB55_32:                              ;   in Loop: Header=BB55_10 Depth=2
	s_or_b32 exec_lo, exec_lo, s43
	v_cmp_class_f64_e64 s44, v[24:25], 0x1f8
	s_and_saveexec_b32 s43, s44
	s_cbranch_execz .LBB55_9
	s_branch .LBB55_42
.LBB55_33:                              ;   in Loop: Header=BB55_10 Depth=2
	s_mov_b32 s44, exec_lo
	v_cmpx_lt_i32_e64 v9, v31
	s_cbranch_execz .LBB55_48
; %bb.34:                               ;   in Loop: Header=BB55_10 Depth=2
	v_mov_b32_e32 v12, v9
	s_mov_b32 s46, 0
                                        ; implicit-def: $sgpr45
                                        ; implicit-def: $sgpr48
                                        ; implicit-def: $sgpr47
	s_inst_prefetch 0x1
	s_branch .LBB55_36
	.p2align	6
.LBB55_35:                              ;   in Loop: Header=BB55_36 Depth=3
	s_or_b32 exec_lo, exec_lo, s49
	s_and_b32 s49, exec_lo, s48
	s_or_b32 s46, s49, s46
	s_andn2_b32 s45, s45, exec_lo
	s_and_b32 s49, s47, exec_lo
	s_or_b32 s45, s45, s49
	s_andn2_b32 exec_lo, exec_lo, s46
	s_cbranch_execz .LBB55_45
.LBB55_36:                              ;   Parent Loop BB55_6 Depth=1
                                        ;     Parent Loop BB55_10 Depth=2
                                        ; =>    This Inner Loop Header: Depth=3
	v_add_nc_u32_e32 v26, v13, v12
	s_or_b32 s47, s47, exec_lo
	s_or_b32 s48, s48, exec_lo
	s_mov_b32 s49, exec_lo
	v_ashrrev_i32_e32 v27, 31, v26
	v_lshlrev_b64 v[37:38], 2, v[26:27]
	v_add_co_u32 v37, vcc_lo, s20, v37
	v_add_co_ci_u32_e64 v38, null, s21, v38, vcc_lo
	global_load_dword v37, v[37:38], off
	s_waitcnt vmcnt(0)
	v_subrev_nc_u32_e32 v37, s37, v37
	v_cmpx_ne_u32_e64 v37, v14
	s_cbranch_execz .LBB55_35
; %bb.37:                               ;   in Loop: Header=BB55_36 Depth=3
	v_add_nc_u32_e32 v12, 1, v12
	s_andn2_b32 s48, s48, exec_lo
	s_andn2_b32 s47, s47, exec_lo
	v_cmp_ge_i32_e32 vcc_lo, v12, v31
	s_and_b32 s50, vcc_lo, exec_lo
	s_or_b32 s48, s48, s50
	s_branch .LBB55_35
.LBB55_38:                              ;   in Loop: Header=BB55_10 Depth=2
	v_mov_b32_e32 v24, 0
	v_mov_b32_e32 v25, 0
	s_mov_b32 s44, exec_lo
	v_cmpx_neq_f64_e32 0, v[16:17]
	s_cbranch_execz .LBB55_40
; %bb.39:                               ;   in Loop: Header=BB55_10 Depth=2
	v_div_scale_f64 v[24:25], null, v[22:23], v[22:23], v[3:4]
	v_div_scale_f64 v[39:40], vcc_lo, v[3:4], v[22:23], v[3:4]
	v_rcp_f64_e32 v[26:27], v[24:25]
	v_fma_f64 v[37:38], -v[24:25], v[26:27], 1.0
	v_fma_f64 v[26:27], v[26:27], v[37:38], v[26:27]
	v_fma_f64 v[37:38], -v[24:25], v[26:27], 1.0
	v_fma_f64 v[26:27], v[26:27], v[37:38], v[26:27]
	v_mul_f64 v[37:38], v[39:40], v[26:27]
	v_fma_f64 v[24:25], -v[24:25], v[37:38], v[39:40]
	v_div_fmas_f64 v[24:25], v[24:25], v[26:27], v[37:38]
	v_div_fixup_f64 v[3:4], v[24:25], v[22:23], v[3:4]
	v_fma_f64 v[3:4], v[3:4], v[3:4], 1.0
	v_cmp_gt_f64_e32 vcc_lo, 0x10000000, v[3:4]
	v_cndmask_b32_e64 v12, 0, 0x100, vcc_lo
	v_ldexp_f64 v[3:4], v[3:4], v12
	v_cndmask_b32_e64 v12, 0, 0xffffff80, vcc_lo
	v_rsq_f64_e32 v[24:25], v[3:4]
	v_cmp_class_f64_e64 vcc_lo, v[3:4], 0x260
	v_mul_f64 v[26:27], v[3:4], v[24:25]
	v_mul_f64 v[24:25], v[24:25], 0.5
	v_fma_f64 v[37:38], -v[24:25], v[26:27], 0.5
	v_fma_f64 v[26:27], v[26:27], v[37:38], v[26:27]
	v_fma_f64 v[24:25], v[24:25], v[37:38], v[24:25]
	v_fma_f64 v[37:38], -v[26:27], v[26:27], v[3:4]
	v_fma_f64 v[26:27], v[37:38], v[24:25], v[26:27]
	v_fma_f64 v[37:38], -v[26:27], v[26:27], v[3:4]
	v_fma_f64 v[24:25], v[37:38], v[24:25], v[26:27]
	v_ldexp_f64 v[24:25], v[24:25], v12
	v_cndmask_b32_e32 v4, v25, v4, vcc_lo
	v_cndmask_b32_e32 v3, v24, v3, vcc_lo
	v_mul_f64 v[24:25], v[22:23], v[3:4]
.LBB55_40:                              ;   in Loop: Header=BB55_10 Depth=2
	s_or_b32 exec_lo, exec_lo, s44
                                        ; implicit-def: $vgpr3_vgpr4
                                        ; implicit-def: $vgpr22_vgpr23
	s_andn2_saveexec_b32 s43, s43
	s_cbranch_execz .LBB55_32
.LBB55_41:                              ;   in Loop: Header=BB55_10 Depth=2
	v_div_scale_f64 v[24:25], null, v[3:4], v[3:4], v[22:23]
	v_div_scale_f64 v[39:40], vcc_lo, v[22:23], v[3:4], v[22:23]
	v_rcp_f64_e32 v[26:27], v[24:25]
	v_fma_f64 v[37:38], -v[24:25], v[26:27], 1.0
	v_fma_f64 v[26:27], v[26:27], v[37:38], v[26:27]
	v_fma_f64 v[37:38], -v[24:25], v[26:27], 1.0
	v_fma_f64 v[26:27], v[26:27], v[37:38], v[26:27]
	v_mul_f64 v[37:38], v[39:40], v[26:27]
	v_fma_f64 v[24:25], -v[24:25], v[37:38], v[39:40]
	v_div_fmas_f64 v[24:25], v[24:25], v[26:27], v[37:38]
	v_div_fixup_f64 v[22:23], v[24:25], v[3:4], v[22:23]
	v_fma_f64 v[22:23], v[22:23], v[22:23], 1.0
	v_cmp_gt_f64_e32 vcc_lo, 0x10000000, v[22:23]
	v_cndmask_b32_e64 v12, 0, 0x100, vcc_lo
	v_ldexp_f64 v[22:23], v[22:23], v12
	v_cndmask_b32_e64 v12, 0, 0xffffff80, vcc_lo
	v_rsq_f64_e32 v[24:25], v[22:23]
	v_cmp_class_f64_e64 vcc_lo, v[22:23], 0x260
	v_mul_f64 v[26:27], v[22:23], v[24:25]
	v_mul_f64 v[24:25], v[24:25], 0.5
	v_fma_f64 v[37:38], -v[24:25], v[26:27], 0.5
	v_fma_f64 v[26:27], v[26:27], v[37:38], v[26:27]
	v_fma_f64 v[24:25], v[24:25], v[37:38], v[24:25]
	v_fma_f64 v[37:38], -v[26:27], v[26:27], v[22:23]
	v_fma_f64 v[26:27], v[37:38], v[24:25], v[26:27]
	v_fma_f64 v[37:38], -v[26:27], v[26:27], v[22:23]
	v_fma_f64 v[24:25], v[37:38], v[24:25], v[26:27]
	v_ldexp_f64 v[24:25], v[24:25], v12
	v_cndmask_b32_e32 v23, v25, v23, vcc_lo
	v_cndmask_b32_e32 v22, v24, v22, vcc_lo
	v_mul_f64 v[24:25], v[3:4], v[22:23]
	s_or_b32 exec_lo, exec_lo, s43
	v_cmp_class_f64_e64 s44, v[24:25], 0x1f8
	s_and_saveexec_b32 s43, s44
	s_cbranch_execz .LBB55_9
.LBB55_42:                              ;   in Loop: Header=BB55_10 Depth=2
	s_mov_b32 s44, 0
                                        ; implicit-def: $vgpr3_vgpr4
	s_and_saveexec_b32 s45, s2
	s_xor_b32 s2, exec_lo, s45
	s_cbranch_execnz .LBB55_56
; %bb.43:                               ;   in Loop: Header=BB55_10 Depth=2
	s_andn2_saveexec_b32 s1, s2
	s_cbranch_execnz .LBB55_69
.LBB55_44:                              ;   in Loop: Header=BB55_10 Depth=2
	s_or_b32 exec_lo, exec_lo, s1
	s_and_b32 exec_lo, exec_lo, s44
	s_cbranch_execz .LBB55_9
	s_branch .LBB55_78
.LBB55_45:                              ;   in Loop: Header=BB55_10 Depth=2
	s_inst_prefetch 0x2
	s_or_b32 exec_lo, exec_lo, s46
	s_and_saveexec_b32 s46, s45
	s_xor_b32 s45, exec_lo, s46
	s_cbranch_execz .LBB55_47
; %bb.46:                               ;   in Loop: Header=BB55_10 Depth=2
	v_lshlrev_b64 v[37:38], 4, v[14:15]
	v_lshlrev_b64 v[26:27], 4, v[26:27]
	v_add_co_u32 v37, vcc_lo, s6, v37
	v_add_co_ci_u32_e64 v38, null, s7, v38, vcc_lo
	v_add_co_u32 v26, vcc_lo, s22, v26
	v_add_co_ci_u32_e64 v27, null, s23, v27, vcc_lo
	global_load_dwordx4 v[37:40], v[37:38], off
	global_load_dwordx4 v[41:44], v[26:27], off
	s_waitcnt vmcnt(0)
	v_mul_f64 v[26:27], v[39:40], -v[43:44]
	v_mul_f64 v[39:40], v[39:40], v[41:42]
	v_fma_f64 v[26:27], v[41:42], v[37:38], v[26:27]
	v_fma_f64 v[37:38], v[43:44], v[37:38], v[39:40]
	v_add_f64 v[22:23], v[22:23], v[26:27]
	v_add_f64 v[24:25], v[24:25], v[37:38]
.LBB55_47:                              ;   in Loop: Header=BB55_10 Depth=2
	s_or_b32 exec_lo, exec_lo, s45
.LBB55_48:                              ;   in Loop: Header=BB55_10 Depth=2
	s_or_b32 exec_lo, exec_lo, s44
	s_andn2_saveexec_b32 s43, s43
	s_cbranch_execz .LBB55_22
.LBB55_49:                              ;   in Loop: Header=BB55_10 Depth=2
	v_mov_b32_e32 v12, v19
	s_mov_b32 s45, 0
                                        ; implicit-def: $sgpr44
                                        ; implicit-def: $sgpr47
                                        ; implicit-def: $sgpr46
	s_inst_prefetch 0x1
	s_branch .LBB55_51
	.p2align	6
.LBB55_50:                              ;   in Loop: Header=BB55_51 Depth=3
	s_or_b32 exec_lo, exec_lo, s48
	s_and_b32 s48, exec_lo, s47
	s_or_b32 s45, s48, s45
	s_andn2_b32 s44, s44, exec_lo
	s_and_b32 s48, s46, exec_lo
	s_or_b32 s44, s44, s48
	s_andn2_b32 exec_lo, exec_lo, s45
	s_cbranch_execz .LBB55_53
.LBB55_51:                              ;   Parent Loop BB55_6 Depth=1
                                        ;     Parent Loop BB55_10 Depth=2
                                        ; =>    This Inner Loop Header: Depth=3
	v_add_nc_u32_e32 v26, v18, v12
	s_or_b32 s46, s46, exec_lo
	s_or_b32 s47, s47, exec_lo
	s_mov_b32 s48, exec_lo
	v_ashrrev_i32_e32 v27, 31, v26
	v_lshlrev_b64 v[37:38], 2, v[26:27]
	v_add_co_u32 v37, vcc_lo, s12, v37
	v_add_co_ci_u32_e64 v38, null, s13, v38, vcc_lo
	global_load_dword v37, v[37:38], off
	s_waitcnt vmcnt(0)
	v_subrev_nc_u32_e32 v37, s38, v37
	v_cmpx_ne_u32_e64 v37, v5
	s_cbranch_execz .LBB55_50
; %bb.52:                               ;   in Loop: Header=BB55_51 Depth=3
	v_add_nc_u32_e32 v12, 1, v12
	s_andn2_b32 s47, s47, exec_lo
	s_andn2_b32 s46, s46, exec_lo
	v_cmp_ge_i32_e32 vcc_lo, v12, v36
	s_and_b32 s49, vcc_lo, exec_lo
	s_or_b32 s47, s47, s49
	s_branch .LBB55_50
.LBB55_53:                              ;   in Loop: Header=BB55_10 Depth=2
	s_inst_prefetch 0x2
	s_or_b32 exec_lo, exec_lo, s45
	s_and_saveexec_b32 s45, s44
	s_xor_b32 s44, exec_lo, s45
	s_cbranch_execz .LBB55_55
; %bb.54:                               ;   in Loop: Header=BB55_10 Depth=2
	v_lshlrev_b64 v[26:27], 4, v[26:27]
	v_add_co_u32 v26, vcc_lo, s14, v26
	v_add_co_ci_u32_e64 v27, null, s15, v27, vcc_lo
	global_load_dwordx4 v[37:40], v[26:27], off
	s_waitcnt vmcnt(0)
	v_add_f64 v[22:23], v[22:23], v[37:38]
	v_add_f64 v[24:25], v[24:25], v[39:40]
.LBB55_55:                              ;   in Loop: Header=BB55_10 Depth=2
	s_or_b32 exec_lo, exec_lo, s44
	s_or_b32 exec_lo, exec_lo, s43
	s_mov_b32 s43, exec_lo
	v_cmpx_eq_u32_e64 v5, v14
	s_cbranch_execnz .LBB55_23
	s_branch .LBB55_24
.LBB55_56:                              ;   in Loop: Header=BB55_10 Depth=2
	s_mov_b32 s45, exec_lo
                                        ; implicit-def: $vgpr3_vgpr4
	v_cmpx_ge_i32_e64 v5, v14
	s_xor_b32 s45, exec_lo, s45
	s_cbranch_execz .LBB55_58
; %bb.57:                               ;   in Loop: Header=BB55_10 Depth=2
	v_lshlrev_b64 v[3:4], 4, v[14:15]
	s_mov_b32 s44, exec_lo
                                        ; implicit-def: $vgpr19
                                        ; implicit-def: $vgpr18
                                        ; implicit-def: $vgpr36
	v_add_co_u32 v3, vcc_lo, s6, v3
	v_add_co_ci_u32_e64 v4, null, s7, v4, vcc_lo
	global_store_dwordx2 v[3:4], v[20:21], off
                                        ; implicit-def: $vgpr20_vgpr21
.LBB55_58:                              ;   in Loop: Header=BB55_10 Depth=2
	s_andn2_saveexec_b32 s45, s45
	s_cbranch_execz .LBB55_68
; %bb.59:                               ;   in Loop: Header=BB55_10 Depth=2
	s_mov_b32 s47, s44
                                        ; implicit-def: $vgpr3_vgpr4
	s_and_saveexec_b32 s46, s1
	s_cbranch_execz .LBB55_67
; %bb.60:                               ;   in Loop: Header=BB55_10 Depth=2
	s_mov_b32 s47, 0
                                        ; implicit-def: $sgpr1
                                        ; implicit-def: $sgpr49
                                        ; implicit-def: $sgpr48
	s_inst_prefetch 0x1
	s_branch .LBB55_62
	.p2align	6
.LBB55_61:                              ;   in Loop: Header=BB55_62 Depth=3
	s_or_b32 exec_lo, exec_lo, s50
	s_and_b32 s50, exec_lo, s49
	s_or_b32 s47, s50, s47
	s_andn2_b32 s1, s1, exec_lo
	s_and_b32 s50, s48, exec_lo
	s_or_b32 s1, s1, s50
	s_andn2_b32 exec_lo, exec_lo, s47
	s_cbranch_execz .LBB55_64
.LBB55_62:                              ;   Parent Loop BB55_6 Depth=1
                                        ;     Parent Loop BB55_10 Depth=2
                                        ; =>    This Inner Loop Header: Depth=3
	v_add_nc_u32_e32 v14, v18, v19
	s_or_b32 s48, s48, exec_lo
	s_or_b32 s49, s49, exec_lo
	s_mov_b32 s50, exec_lo
	v_ashrrev_i32_e32 v15, 31, v14
	v_lshlrev_b64 v[3:4], 2, v[14:15]
	v_add_co_u32 v3, vcc_lo, s12, v3
	v_add_co_ci_u32_e64 v4, null, s13, v4, vcc_lo
	global_load_dword v3, v[3:4], off
	s_waitcnt vmcnt(0)
	v_subrev_nc_u32_e32 v3, s38, v3
	v_cmpx_ne_u32_e64 v3, v5
	s_cbranch_execz .LBB55_61
; %bb.63:                               ;   in Loop: Header=BB55_62 Depth=3
	v_add_nc_u32_e32 v19, 1, v19
	s_andn2_b32 s49, s49, exec_lo
	s_andn2_b32 s48, s48, exec_lo
	v_cmp_ge_i32_e32 vcc_lo, v19, v36
	s_and_b32 s51, vcc_lo, exec_lo
	s_or_b32 s49, s49, s51
	s_branch .LBB55_61
.LBB55_64:                              ;   in Loop: Header=BB55_10 Depth=2
	s_inst_prefetch 0x2
	s_or_b32 exec_lo, exec_lo, s47
	s_mov_b32 s47, s44
                                        ; implicit-def: $vgpr3_vgpr4
	s_and_saveexec_b32 s48, s1
	s_xor_b32 s1, exec_lo, s48
	s_cbranch_execz .LBB55_66
; %bb.65:                               ;   in Loop: Header=BB55_10 Depth=2
	v_lshlrev_b64 v[3:4], 4, v[14:15]
	s_or_b32 s47, s44, exec_lo
	v_add_co_u32 v3, vcc_lo, s14, v3
	v_add_co_ci_u32_e64 v4, null, s15, v4, vcc_lo
	global_store_dwordx2 v[3:4], v[20:21], off
.LBB55_66:                              ;   in Loop: Header=BB55_10 Depth=2
	s_or_b32 exec_lo, exec_lo, s1
	s_andn2_b32 s1, s44, exec_lo
	s_and_b32 s47, s47, exec_lo
	s_or_b32 s47, s1, s47
.LBB55_67:                              ;   in Loop: Header=BB55_10 Depth=2
	s_or_b32 exec_lo, exec_lo, s46
	s_andn2_b32 s1, s44, exec_lo
	s_and_b32 s44, s47, exec_lo
	s_or_b32 s44, s1, s44
.LBB55_68:                              ;   in Loop: Header=BB55_10 Depth=2
	s_or_b32 exec_lo, exec_lo, s45
	s_and_b32 s44, s44, exec_lo
                                        ; implicit-def: $vgpr20_vgpr21
                                        ; implicit-def: $vgpr14_vgpr15
	s_andn2_saveexec_b32 s1, s2
	s_cbranch_execz .LBB55_44
.LBB55_69:                              ;   in Loop: Header=BB55_10 Depth=2
	s_mov_b32 s45, s44
	s_mov_b32 s2, exec_lo
                                        ; implicit-def: $vgpr3_vgpr4
	v_cmpx_lt_i32_e64 v9, v31
	s_cbranch_execz .LBB55_77
; %bb.70:                               ;   in Loop: Header=BB55_10 Depth=2
	s_mov_b32 s46, 0
                                        ; implicit-def: $sgpr45
                                        ; implicit-def: $sgpr48
                                        ; implicit-def: $sgpr47
	s_inst_prefetch 0x1
	s_branch .LBB55_72
	.p2align	6
.LBB55_71:                              ;   in Loop: Header=BB55_72 Depth=3
	s_or_b32 exec_lo, exec_lo, s49
	s_and_b32 s49, exec_lo, s48
	s_or_b32 s46, s49, s46
	s_andn2_b32 s45, s45, exec_lo
	s_and_b32 s49, s47, exec_lo
	s_or_b32 s45, s45, s49
	s_andn2_b32 exec_lo, exec_lo, s46
	s_cbranch_execz .LBB55_74
.LBB55_72:                              ;   Parent Loop BB55_6 Depth=1
                                        ;     Parent Loop BB55_10 Depth=2
                                        ; =>    This Inner Loop Header: Depth=3
	v_add_nc_u32_e32 v18, v13, v9
	s_or_b32 s47, s47, exec_lo
	s_or_b32 s48, s48, exec_lo
	s_mov_b32 s49, exec_lo
	v_ashrrev_i32_e32 v19, 31, v18
	v_lshlrev_b64 v[3:4], 2, v[18:19]
	v_add_co_u32 v3, vcc_lo, s20, v3
	v_add_co_ci_u32_e64 v4, null, s21, v4, vcc_lo
	global_load_dword v3, v[3:4], off
	s_waitcnt vmcnt(0)
	v_subrev_nc_u32_e32 v3, s37, v3
	v_cmpx_ne_u32_e64 v3, v14
	s_cbranch_execz .LBB55_71
; %bb.73:                               ;   in Loop: Header=BB55_72 Depth=3
	v_add_nc_u32_e32 v9, 1, v9
	s_andn2_b32 s48, s48, exec_lo
	s_andn2_b32 s47, s47, exec_lo
	v_cmp_ge_i32_e32 vcc_lo, v9, v31
	s_and_b32 s50, vcc_lo, exec_lo
	s_or_b32 s48, s48, s50
	s_branch .LBB55_71
.LBB55_74:                              ;   in Loop: Header=BB55_10 Depth=2
	s_inst_prefetch 0x2
	s_or_b32 exec_lo, exec_lo, s46
	s_mov_b32 s46, s44
                                        ; implicit-def: $vgpr3_vgpr4
	s_and_saveexec_b32 s47, s45
	s_xor_b32 s45, exec_lo, s47
	s_cbranch_execz .LBB55_76
; %bb.75:                               ;   in Loop: Header=BB55_10 Depth=2
	v_lshlrev_b64 v[3:4], 4, v[18:19]
	s_or_b32 s46, s44, exec_lo
	v_add_co_u32 v3, vcc_lo, s22, v3
	v_add_co_ci_u32_e64 v4, null, s23, v4, vcc_lo
	global_store_dwordx2 v[3:4], v[20:21], off
.LBB55_76:                              ;   in Loop: Header=BB55_10 Depth=2
	s_or_b32 exec_lo, exec_lo, s45
	s_andn2_b32 s45, s44, exec_lo
	s_and_b32 s46, s46, exec_lo
	s_or_b32 s45, s45, s46
.LBB55_77:                              ;   in Loop: Header=BB55_10 Depth=2
	s_or_b32 exec_lo, exec_lo, s2
	s_andn2_b32 s2, s44, exec_lo
	s_and_b32 s44, s45, exec_lo
	s_or_b32 s44, s2, s44
	s_or_b32 exec_lo, exec_lo, s1
	s_and_b32 exec_lo, exec_lo, s44
	s_cbranch_execz .LBB55_9
.LBB55_78:                              ;   in Loop: Header=BB55_10 Depth=2
	global_store_dwordx2 v[3:4], v[16:17], off offset:8
	s_branch .LBB55_9
.LBB55_79:
	s_or_b32 exec_lo, exec_lo, s39
.LBB55_80:
	s_or_b32 exec_lo, exec_lo, s34
.LBB55_81:
	s_or_b32 exec_lo, exec_lo, s3
	v_mbcnt_lo_u32_b32 v5, -1, 0
	v_or_b32_e32 v1, 32, v5
	v_xor_b32_e32 v3, 16, v5
	v_xor_b32_e32 v6, 8, v5
	v_cmp_gt_i32_e32 vcc_lo, 32, v1
	v_cmp_gt_i32_e64 s0, 32, v3
	v_cndmask_b32_e32 v1, v5, v1, vcc_lo
	v_cndmask_b32_e64 v3, v5, v3, s0
	v_cmp_gt_i32_e64 s0, 32, v6
	v_lshlrev_b32_e32 v2, 2, v1
	v_lshlrev_b32_e32 v3, 2, v3
	v_cndmask_b32_e64 v6, v5, v6, s0
	ds_bpermute_b32 v1, v2, v7
	ds_bpermute_b32 v2, v2, v8
	v_lshlrev_b32_e32 v6, 2, v6
	s_waitcnt lgkmcnt(0)
	v_cmp_lt_f64_e32 vcc_lo, v[7:8], v[1:2]
	v_cndmask_b32_e32 v2, v8, v2, vcc_lo
	v_cndmask_b32_e32 v1, v7, v1, vcc_lo
	ds_bpermute_b32 v4, v3, v2
	ds_bpermute_b32 v3, v3, v1
	s_waitcnt lgkmcnt(0)
	v_cmp_lt_f64_e32 vcc_lo, v[1:2], v[3:4]
	v_cndmask_b32_e32 v2, v2, v4, vcc_lo
	v_cndmask_b32_e32 v1, v1, v3, vcc_lo
	ds_bpermute_b32 v4, v6, v2
	ds_bpermute_b32 v3, v6, v1
	v_xor_b32_e32 v6, 4, v5
	v_cmp_gt_i32_e64 s0, 32, v6
	v_cndmask_b32_e64 v6, v5, v6, s0
	v_lshlrev_b32_e32 v6, 2, v6
	s_waitcnt lgkmcnt(0)
	v_cmp_lt_f64_e32 vcc_lo, v[1:2], v[3:4]
	v_cndmask_b32_e32 v2, v2, v4, vcc_lo
	v_cndmask_b32_e32 v1, v1, v3, vcc_lo
	ds_bpermute_b32 v4, v6, v2
	ds_bpermute_b32 v3, v6, v1
	v_xor_b32_e32 v6, 2, v5
	v_cmp_gt_i32_e64 s0, 32, v6
	v_cndmask_b32_e64 v6, v5, v6, s0
	v_lshlrev_b32_e32 v6, 2, v6
	s_waitcnt lgkmcnt(0)
	v_cmp_lt_f64_e32 vcc_lo, v[1:2], v[3:4]
	v_cndmask_b32_e32 v2, v2, v4, vcc_lo
	v_cndmask_b32_e32 v1, v1, v3, vcc_lo
	ds_bpermute_b32 v4, v6, v2
	ds_bpermute_b32 v3, v6, v1
	v_xor_b32_e32 v6, 1, v5
	v_cmp_gt_i32_e64 s0, 32, v6
	v_cndmask_b32_e64 v5, v5, v6, s0
	s_mov_b32 s0, exec_lo
	v_lshlrev_b32_e32 v5, 2, v5
	s_waitcnt lgkmcnt(0)
	v_cmp_lt_f64_e32 vcc_lo, v[1:2], v[3:4]
	v_cndmask_b32_e32 v2, v2, v4, vcc_lo
	v_cndmask_b32_e32 v1, v1, v3, vcc_lo
	ds_bpermute_b32 v3, v5, v1
	ds_bpermute_b32 v5, v5, v2
	v_cmpx_eq_u32_e32 63, v29
	s_cbranch_execz .LBB55_83
; %bb.82:
	s_waitcnt lgkmcnt(0)
	v_mov_b32_e32 v4, v5
	v_cmp_lt_f64_e32 vcc_lo, v[1:2], v[3:4]
	v_lshlrev_b32_e32 v4, 3, v28
	v_cndmask_b32_e32 v2, v2, v5, vcc_lo
	v_cndmask_b32_e32 v1, v1, v3, vcc_lo
	ds_write_b64 v4, v[1:2]
.LBB55_83:
	s_or_b32 exec_lo, exec_lo, s0
	v_lshlrev_b32_e32 v1, 3, v0
	s_mov_b32 s0, exec_lo
	s_waitcnt lgkmcnt(0)
	s_waitcnt_vscnt null, 0x0
	s_barrier
	buffer_gl0_inv
	v_cmpx_gt_u32_e32 8, v0
	s_cbranch_execz .LBB55_85
; %bb.84:
	ds_read2_b64 v[2:5], v1 offset1:8
	s_waitcnt lgkmcnt(0)
	v_cmp_lt_f64_e32 vcc_lo, v[2:3], v[4:5]
	v_cndmask_b32_e32 v3, v3, v5, vcc_lo
	v_cndmask_b32_e32 v2, v2, v4, vcc_lo
	ds_write_b64 v1, v[2:3]
.LBB55_85:
	s_or_b32 exec_lo, exec_lo, s0
	s_mov_b32 s0, exec_lo
	s_waitcnt lgkmcnt(0)
	s_barrier
	buffer_gl0_inv
	v_cmpx_gt_u32_e32 4, v0
	s_cbranch_execz .LBB55_87
; %bb.86:
	ds_read2_b64 v[2:5], v1 offset1:4
	s_waitcnt lgkmcnt(0)
	v_cmp_lt_f64_e32 vcc_lo, v[2:3], v[4:5]
	v_cndmask_b32_e32 v3, v3, v5, vcc_lo
	v_cndmask_b32_e32 v2, v2, v4, vcc_lo
	ds_write_b64 v1, v[2:3]
.LBB55_87:
	s_or_b32 exec_lo, exec_lo, s0
	s_mov_b32 s0, exec_lo
	s_waitcnt lgkmcnt(0)
	s_barrier
	buffer_gl0_inv
	v_cmpx_gt_u32_e32 2, v0
	s_cbranch_execz .LBB55_89
; %bb.88:
	ds_read2_b64 v[2:5], v1 offset1:2
	s_waitcnt lgkmcnt(0)
	v_cmp_lt_f64_e32 vcc_lo, v[2:3], v[4:5]
	v_cndmask_b32_e32 v3, v3, v5, vcc_lo
	v_cndmask_b32_e32 v2, v2, v4, vcc_lo
	ds_write_b64 v1, v[2:3]
.LBB55_89:
	s_or_b32 exec_lo, exec_lo, s0
	v_cmp_eq_u32_e32 vcc_lo, 0, v0
	s_waitcnt lgkmcnt(0)
	s_barrier
	buffer_gl0_inv
	s_and_saveexec_b32 s1, vcc_lo
	s_cbranch_execz .LBB55_91
; %bb.90:
	v_mov_b32_e32 v4, 0
	ds_read_b128 v[0:3], v4
	s_waitcnt lgkmcnt(0)
	v_cmp_lt_f64_e64 s0, v[0:1], v[2:3]
	v_cndmask_b32_e64 v1, v1, v3, s0
	v_cndmask_b32_e64 v0, v0, v2, s0
	ds_write_b64 v4, v[0:1]
.LBB55_91:
	s_or_b32 exec_lo, exec_lo, s1
	s_waitcnt lgkmcnt(0)
	s_barrier
	buffer_gl0_inv
	s_and_saveexec_b32 s0, vcc_lo
	s_cbranch_execz .LBB55_95
; %bb.92:
	v_mbcnt_lo_u32_b32 v0, exec_lo, 0
	s_mov_b32 s6, 0
	v_cmp_eq_u32_e32 vcc_lo, 0, v0
	s_and_b32 exec_lo, exec_lo, vcc_lo
	s_cbranch_execz .LBB55_95
; %bb.93:
	s_load_dwordx4 s[0:3], s[4:5], 0x88
	v_mov_b32_e32 v6, 0
	s_waitcnt lgkmcnt(0)
	s_clause 0x1
	global_load_dwordx2 v[0:1], v6, s[2:3]
	global_load_dwordx2 v[2:3], v6, s[0:1]
	ds_read_b64 v[4:5], v6
	s_waitcnt vmcnt(1) lgkmcnt(0)
	v_div_scale_f64 v[7:8], null, v[0:1], v[0:1], v[4:5]
	v_rcp_f64_e32 v[9:10], v[7:8]
	v_fma_f64 v[11:12], -v[7:8], v[9:10], 1.0
	v_fma_f64 v[9:10], v[9:10], v[11:12], v[9:10]
	v_fma_f64 v[11:12], -v[7:8], v[9:10], 1.0
	v_fma_f64 v[9:10], v[9:10], v[11:12], v[9:10]
	v_div_scale_f64 v[11:12], vcc_lo, v[4:5], v[0:1], v[4:5]
	v_mul_f64 v[13:14], v[11:12], v[9:10]
	v_fma_f64 v[7:8], -v[7:8], v[13:14], v[11:12]
	v_div_fmas_f64 v[7:8], v[7:8], v[9:10], v[13:14]
	v_div_fixup_f64 v[0:1], v[7:8], v[0:1], v[4:5]
	v_max_f64 v[4:5], v[0:1], v[0:1]
.LBB55_94:                              ; =>This Inner Loop Header: Depth=1
	s_waitcnt vmcnt(0)
	v_max_f64 v[0:1], v[2:3], v[2:3]
	v_max_f64 v[0:1], v[0:1], v[4:5]
	global_atomic_cmpswap_x2 v[0:1], v6, v[0:3], s[0:1] glc
	s_waitcnt vmcnt(0)
	v_cmp_eq_u64_e32 vcc_lo, v[0:1], v[2:3]
	v_mov_b32_e32 v3, v1
	v_mov_b32_e32 v2, v0
	s_or_b32 s6, vcc_lo, s6
	s_andn2_b32 exec_lo, exec_lo, s6
	s_cbranch_execnz .LBB55_94
.LBB55_95:
	s_endpgm
	.section	.rodata,"a",@progbits
	.p2align	6, 0x0
	.amdhsa_kernel _ZN9rocsparseL17kernel_correctionILi1024ELi64E21rocsparse_complex_numIdEiiEEvT3_T2_PKS4_S6_PKS3_PKT1_21rocsparse_index_base_S6_S6_S8_PS9_SC_S6_S6_S8_SD_SC_SD_PNS_15floating_traitsIS9_E6data_tEPKSG_
		.amdhsa_group_segment_fixed_size 128
		.amdhsa_private_segment_fixed_size 0
		.amdhsa_kernarg_size 152
		.amdhsa_user_sgpr_count 6
		.amdhsa_user_sgpr_private_segment_buffer 1
		.amdhsa_user_sgpr_dispatch_ptr 0
		.amdhsa_user_sgpr_queue_ptr 0
		.amdhsa_user_sgpr_kernarg_segment_ptr 1
		.amdhsa_user_sgpr_dispatch_id 0
		.amdhsa_user_sgpr_flat_scratch_init 0
		.amdhsa_user_sgpr_private_segment_size 0
		.amdhsa_wavefront_size32 1
		.amdhsa_uses_dynamic_stack 0
		.amdhsa_system_sgpr_private_segment_wavefront_offset 0
		.amdhsa_system_sgpr_workgroup_id_x 1
		.amdhsa_system_sgpr_workgroup_id_y 0
		.amdhsa_system_sgpr_workgroup_id_z 0
		.amdhsa_system_sgpr_workgroup_info 0
		.amdhsa_system_vgpr_workitem_id 0
		.amdhsa_next_free_vgpr 49
		.amdhsa_next_free_sgpr 52
		.amdhsa_reserve_vcc 1
		.amdhsa_reserve_flat_scratch 0
		.amdhsa_float_round_mode_32 0
		.amdhsa_float_round_mode_16_64 0
		.amdhsa_float_denorm_mode_32 3
		.amdhsa_float_denorm_mode_16_64 3
		.amdhsa_dx10_clamp 1
		.amdhsa_ieee_mode 1
		.amdhsa_fp16_overflow 0
		.amdhsa_workgroup_processor_mode 1
		.amdhsa_memory_ordered 1
		.amdhsa_forward_progress 1
		.amdhsa_shared_vgpr_count 0
		.amdhsa_exception_fp_ieee_invalid_op 0
		.amdhsa_exception_fp_denorm_src 0
		.amdhsa_exception_fp_ieee_div_zero 0
		.amdhsa_exception_fp_ieee_overflow 0
		.amdhsa_exception_fp_ieee_underflow 0
		.amdhsa_exception_fp_ieee_inexact 0
		.amdhsa_exception_int_div_zero 0
	.end_amdhsa_kernel
	.section	.text._ZN9rocsparseL17kernel_correctionILi1024ELi64E21rocsparse_complex_numIdEiiEEvT3_T2_PKS4_S6_PKS3_PKT1_21rocsparse_index_base_S6_S6_S8_PS9_SC_S6_S6_S8_SD_SC_SD_PNS_15floating_traitsIS9_E6data_tEPKSG_,"axG",@progbits,_ZN9rocsparseL17kernel_correctionILi1024ELi64E21rocsparse_complex_numIdEiiEEvT3_T2_PKS4_S6_PKS3_PKT1_21rocsparse_index_base_S6_S6_S8_PS9_SC_S6_S6_S8_SD_SC_SD_PNS_15floating_traitsIS9_E6data_tEPKSG_,comdat
.Lfunc_end55:
	.size	_ZN9rocsparseL17kernel_correctionILi1024ELi64E21rocsparse_complex_numIdEiiEEvT3_T2_PKS4_S6_PKS3_PKT1_21rocsparse_index_base_S6_S6_S8_PS9_SC_S6_S6_S8_SD_SC_SD_PNS_15floating_traitsIS9_E6data_tEPKSG_, .Lfunc_end55-_ZN9rocsparseL17kernel_correctionILi1024ELi64E21rocsparse_complex_numIdEiiEEvT3_T2_PKS4_S6_PKS3_PKT1_21rocsparse_index_base_S6_S6_S8_PS9_SC_S6_S6_S8_SD_SC_SD_PNS_15floating_traitsIS9_E6data_tEPKSG_
                                        ; -- End function
	.set _ZN9rocsparseL17kernel_correctionILi1024ELi64E21rocsparse_complex_numIdEiiEEvT3_T2_PKS4_S6_PKS3_PKT1_21rocsparse_index_base_S6_S6_S8_PS9_SC_S6_S6_S8_SD_SC_SD_PNS_15floating_traitsIS9_E6data_tEPKSG_.num_vgpr, 49
	.set _ZN9rocsparseL17kernel_correctionILi1024ELi64E21rocsparse_complex_numIdEiiEEvT3_T2_PKS4_S6_PKS3_PKT1_21rocsparse_index_base_S6_S6_S8_PS9_SC_S6_S6_S8_SD_SC_SD_PNS_15floating_traitsIS9_E6data_tEPKSG_.num_agpr, 0
	.set _ZN9rocsparseL17kernel_correctionILi1024ELi64E21rocsparse_complex_numIdEiiEEvT3_T2_PKS4_S6_PKS3_PKT1_21rocsparse_index_base_S6_S6_S8_PS9_SC_S6_S6_S8_SD_SC_SD_PNS_15floating_traitsIS9_E6data_tEPKSG_.numbered_sgpr, 52
	.set _ZN9rocsparseL17kernel_correctionILi1024ELi64E21rocsparse_complex_numIdEiiEEvT3_T2_PKS4_S6_PKS3_PKT1_21rocsparse_index_base_S6_S6_S8_PS9_SC_S6_S6_S8_SD_SC_SD_PNS_15floating_traitsIS9_E6data_tEPKSG_.num_named_barrier, 0
	.set _ZN9rocsparseL17kernel_correctionILi1024ELi64E21rocsparse_complex_numIdEiiEEvT3_T2_PKS4_S6_PKS3_PKT1_21rocsparse_index_base_S6_S6_S8_PS9_SC_S6_S6_S8_SD_SC_SD_PNS_15floating_traitsIS9_E6data_tEPKSG_.private_seg_size, 0
	.set _ZN9rocsparseL17kernel_correctionILi1024ELi64E21rocsparse_complex_numIdEiiEEvT3_T2_PKS4_S6_PKS3_PKT1_21rocsparse_index_base_S6_S6_S8_PS9_SC_S6_S6_S8_SD_SC_SD_PNS_15floating_traitsIS9_E6data_tEPKSG_.uses_vcc, 1
	.set _ZN9rocsparseL17kernel_correctionILi1024ELi64E21rocsparse_complex_numIdEiiEEvT3_T2_PKS4_S6_PKS3_PKT1_21rocsparse_index_base_S6_S6_S8_PS9_SC_S6_S6_S8_SD_SC_SD_PNS_15floating_traitsIS9_E6data_tEPKSG_.uses_flat_scratch, 0
	.set _ZN9rocsparseL17kernel_correctionILi1024ELi64E21rocsparse_complex_numIdEiiEEvT3_T2_PKS4_S6_PKS3_PKT1_21rocsparse_index_base_S6_S6_S8_PS9_SC_S6_S6_S8_SD_SC_SD_PNS_15floating_traitsIS9_E6data_tEPKSG_.has_dyn_sized_stack, 0
	.set _ZN9rocsparseL17kernel_correctionILi1024ELi64E21rocsparse_complex_numIdEiiEEvT3_T2_PKS4_S6_PKS3_PKT1_21rocsparse_index_base_S6_S6_S8_PS9_SC_S6_S6_S8_SD_SC_SD_PNS_15floating_traitsIS9_E6data_tEPKSG_.has_recursion, 0
	.set _ZN9rocsparseL17kernel_correctionILi1024ELi64E21rocsparse_complex_numIdEiiEEvT3_T2_PKS4_S6_PKS3_PKT1_21rocsparse_index_base_S6_S6_S8_PS9_SC_S6_S6_S8_SD_SC_SD_PNS_15floating_traitsIS9_E6data_tEPKSG_.has_indirect_call, 0
	.section	.AMDGPU.csdata,"",@progbits
; Kernel info:
; codeLenInByte = 4868
; TotalNumSgprs: 54
; NumVgprs: 49
; ScratchSize: 0
; MemoryBound: 1
; FloatMode: 240
; IeeeMode: 1
; LDSByteSize: 128 bytes/workgroup (compile time only)
; SGPRBlocks: 0
; VGPRBlocks: 6
; NumSGPRsForWavesPerEU: 54
; NumVGPRsForWavesPerEU: 49
; Occupancy: 16
; WaveLimiterHint : 1
; COMPUTE_PGM_RSRC2:SCRATCH_EN: 0
; COMPUTE_PGM_RSRC2:USER_SGPR: 6
; COMPUTE_PGM_RSRC2:TRAP_HANDLER: 0
; COMPUTE_PGM_RSRC2:TGID_X_EN: 1
; COMPUTE_PGM_RSRC2:TGID_Y_EN: 0
; COMPUTE_PGM_RSRC2:TGID_Z_EN: 0
; COMPUTE_PGM_RSRC2:TIDIG_COMP_CNT: 0
	.section	.AMDGPU.gpr_maximums,"",@progbits
	.set amdgpu.max_num_vgpr, 0
	.set amdgpu.max_num_agpr, 0
	.set amdgpu.max_num_sgpr, 0
	.section	.AMDGPU.csdata,"",@progbits
	.type	__hip_cuid_71047e3c795ce95a,@object ; @__hip_cuid_71047e3c795ce95a
	.section	.bss,"aw",@nobits
	.globl	__hip_cuid_71047e3c795ce95a
__hip_cuid_71047e3c795ce95a:
	.byte	0                               ; 0x0
	.size	__hip_cuid_71047e3c795ce95a, 1

	.ident	"AMD clang version 22.0.0git (https://github.com/RadeonOpenCompute/llvm-project roc-7.2.4 26084 f58b06dce1f9c15707c5f808fd002e18c2accf7e)"
	.section	".note.GNU-stack","",@progbits
	.addrsig
	.addrsig_sym __hip_cuid_71047e3c795ce95a
	.amdgpu_metadata
---
amdhsa.kernels:
  - .args:
      - .offset:         0
        .size:           4
        .value_kind:     by_value
      - .offset:         4
        .size:           4
        .value_kind:     by_value
      - .actual_access:  read_only
        .address_space:  global
        .offset:         8
        .size:           8
        .value_kind:     global_buffer
      - .actual_access:  read_only
        .address_space:  global
        .offset:         16
        .size:           8
        .value_kind:     global_buffer
      - .actual_access:  read_only
        .address_space:  global
        .offset:         24
        .size:           8
        .value_kind:     global_buffer
      - .actual_access:  read_only
        .address_space:  global
        .offset:         32
        .size:           8
        .value_kind:     global_buffer
      - .offset:         40
        .size:           4
        .value_kind:     by_value
      - .actual_access:  read_only
        .address_space:  global
        .offset:         48
        .size:           8
        .value_kind:     global_buffer
      - .actual_access:  read_only
        .address_space:  global
        .offset:         56
        .size:           8
        .value_kind:     global_buffer
      - .actual_access:  read_only
        .address_space:  global
        .offset:         64
        .size:           8
        .value_kind:     global_buffer
      - .address_space:  global
        .offset:         72
        .size:           8
        .value_kind:     global_buffer
      - .offset:         80
        .size:           4
        .value_kind:     by_value
      - .actual_access:  read_only
        .address_space:  global
        .offset:         88
        .size:           8
        .value_kind:     global_buffer
      - .actual_access:  read_only
        .address_space:  global
        .offset:         96
        .size:           8
        .value_kind:     global_buffer
      - .actual_access:  read_only
        .address_space:  global
        .offset:         104
        .size:           8
        .value_kind:     global_buffer
      - .address_space:  global
        .offset:         112
        .size:           8
        .value_kind:     global_buffer
      - .offset:         120
        .size:           4
        .value_kind:     by_value
      - .address_space:  global
        .offset:         128
        .size:           8
        .value_kind:     global_buffer
    .group_segment_fixed_size: 0
    .kernarg_segment_align: 8
    .kernarg_segment_size: 136
    .language:       OpenCL C
    .language_version:
      - 2
      - 0
    .max_flat_workgroup_size: 1024
    .name:           _ZN9rocsparseL25kernel_correction_no_normILi1024ELi1EfiiEEvT3_T2_PKS2_S4_PKS1_PKT1_21rocsparse_index_base_S4_S4_S6_PS7_SA_S4_S4_S6_SB_SA_SB_
    .private_segment_fixed_size: 0
    .sgpr_count:     48
    .sgpr_spill_count: 0
    .symbol:         _ZN9rocsparseL25kernel_correction_no_normILi1024ELi1EfiiEEvT3_T2_PKS2_S4_PKS1_PKT1_21rocsparse_index_base_S4_S4_S6_PS7_SA_S4_S4_S6_SB_SA_SB_.kd
    .uniform_work_group_size: 1
    .uses_dynamic_stack: false
    .vgpr_count:     33
    .vgpr_spill_count: 0
    .wavefront_size: 32
    .workgroup_processor_mode: 1
  - .args:
      - .offset:         0
        .size:           4
        .value_kind:     by_value
      - .offset:         4
        .size:           4
        .value_kind:     by_value
      - .actual_access:  read_only
        .address_space:  global
        .offset:         8
        .size:           8
        .value_kind:     global_buffer
      - .actual_access:  read_only
        .address_space:  global
        .offset:         16
        .size:           8
        .value_kind:     global_buffer
      - .actual_access:  read_only
        .address_space:  global
        .offset:         24
        .size:           8
        .value_kind:     global_buffer
      - .actual_access:  read_only
        .address_space:  global
        .offset:         32
        .size:           8
        .value_kind:     global_buffer
      - .offset:         40
        .size:           4
        .value_kind:     by_value
      - .actual_access:  read_only
        .address_space:  global
        .offset:         48
        .size:           8
        .value_kind:     global_buffer
      - .actual_access:  read_only
        .address_space:  global
        .offset:         56
        .size:           8
        .value_kind:     global_buffer
      - .actual_access:  read_only
        .address_space:  global
        .offset:         64
        .size:           8
        .value_kind:     global_buffer
      - .address_space:  global
        .offset:         72
        .size:           8
        .value_kind:     global_buffer
      - .offset:         80
        .size:           4
        .value_kind:     by_value
      - .actual_access:  read_only
        .address_space:  global
        .offset:         88
        .size:           8
        .value_kind:     global_buffer
      - .actual_access:  read_only
        .address_space:  global
        .offset:         96
        .size:           8
        .value_kind:     global_buffer
      - .actual_access:  read_only
        .address_space:  global
        .offset:         104
        .size:           8
        .value_kind:     global_buffer
      - .address_space:  global
        .offset:         112
        .size:           8
        .value_kind:     global_buffer
      - .offset:         120
        .size:           4
        .value_kind:     by_value
      - .address_space:  global
        .offset:         128
        .size:           8
        .value_kind:     global_buffer
    .group_segment_fixed_size: 0
    .kernarg_segment_align: 8
    .kernarg_segment_size: 136
    .language:       OpenCL C
    .language_version:
      - 2
      - 0
    .max_flat_workgroup_size: 1024
    .name:           _ZN9rocsparseL25kernel_correction_no_normILi1024ELi2EfiiEEvT3_T2_PKS2_S4_PKS1_PKT1_21rocsparse_index_base_S4_S4_S6_PS7_SA_S4_S4_S6_SB_SA_SB_
    .private_segment_fixed_size: 0
    .sgpr_count:     48
    .sgpr_spill_count: 0
    .symbol:         _ZN9rocsparseL25kernel_correction_no_normILi1024ELi2EfiiEEvT3_T2_PKS2_S4_PKS1_PKT1_21rocsparse_index_base_S4_S4_S6_PS7_SA_S4_S4_S6_SB_SA_SB_.kd
    .uniform_work_group_size: 1
    .uses_dynamic_stack: false
    .vgpr_count:     34
    .vgpr_spill_count: 0
    .wavefront_size: 32
    .workgroup_processor_mode: 1
  - .args:
      - .offset:         0
        .size:           4
        .value_kind:     by_value
      - .offset:         4
        .size:           4
        .value_kind:     by_value
      - .actual_access:  read_only
        .address_space:  global
        .offset:         8
        .size:           8
        .value_kind:     global_buffer
      - .actual_access:  read_only
        .address_space:  global
        .offset:         16
        .size:           8
        .value_kind:     global_buffer
      - .actual_access:  read_only
        .address_space:  global
        .offset:         24
        .size:           8
        .value_kind:     global_buffer
      - .actual_access:  read_only
        .address_space:  global
        .offset:         32
        .size:           8
        .value_kind:     global_buffer
      - .offset:         40
        .size:           4
        .value_kind:     by_value
      - .actual_access:  read_only
        .address_space:  global
        .offset:         48
        .size:           8
        .value_kind:     global_buffer
      - .actual_access:  read_only
        .address_space:  global
        .offset:         56
        .size:           8
        .value_kind:     global_buffer
      - .actual_access:  read_only
        .address_space:  global
        .offset:         64
        .size:           8
        .value_kind:     global_buffer
      - .address_space:  global
        .offset:         72
        .size:           8
        .value_kind:     global_buffer
      - .offset:         80
        .size:           4
        .value_kind:     by_value
      - .actual_access:  read_only
        .address_space:  global
        .offset:         88
        .size:           8
        .value_kind:     global_buffer
      - .actual_access:  read_only
        .address_space:  global
        .offset:         96
        .size:           8
        .value_kind:     global_buffer
      - .actual_access:  read_only
        .address_space:  global
        .offset:         104
        .size:           8
        .value_kind:     global_buffer
      - .address_space:  global
        .offset:         112
        .size:           8
        .value_kind:     global_buffer
      - .offset:         120
        .size:           4
        .value_kind:     by_value
      - .address_space:  global
        .offset:         128
        .size:           8
        .value_kind:     global_buffer
    .group_segment_fixed_size: 0
    .kernarg_segment_align: 8
    .kernarg_segment_size: 136
    .language:       OpenCL C
    .language_version:
      - 2
      - 0
    .max_flat_workgroup_size: 1024
    .name:           _ZN9rocsparseL25kernel_correction_no_normILi1024ELi4EfiiEEvT3_T2_PKS2_S4_PKS1_PKT1_21rocsparse_index_base_S4_S4_S6_PS7_SA_S4_S4_S6_SB_SA_SB_
    .private_segment_fixed_size: 0
    .sgpr_count:     48
    .sgpr_spill_count: 0
    .symbol:         _ZN9rocsparseL25kernel_correction_no_normILi1024ELi4EfiiEEvT3_T2_PKS2_S4_PKS1_PKT1_21rocsparse_index_base_S4_S4_S6_PS7_SA_S4_S4_S6_SB_SA_SB_.kd
    .uniform_work_group_size: 1
    .uses_dynamic_stack: false
    .vgpr_count:     34
    .vgpr_spill_count: 0
    .wavefront_size: 32
    .workgroup_processor_mode: 1
  - .args:
      - .offset:         0
        .size:           4
        .value_kind:     by_value
      - .offset:         4
        .size:           4
        .value_kind:     by_value
      - .actual_access:  read_only
        .address_space:  global
        .offset:         8
        .size:           8
        .value_kind:     global_buffer
      - .actual_access:  read_only
        .address_space:  global
        .offset:         16
        .size:           8
        .value_kind:     global_buffer
      - .actual_access:  read_only
        .address_space:  global
        .offset:         24
        .size:           8
        .value_kind:     global_buffer
      - .actual_access:  read_only
        .address_space:  global
        .offset:         32
        .size:           8
        .value_kind:     global_buffer
      - .offset:         40
        .size:           4
        .value_kind:     by_value
      - .actual_access:  read_only
        .address_space:  global
        .offset:         48
        .size:           8
        .value_kind:     global_buffer
      - .actual_access:  read_only
        .address_space:  global
        .offset:         56
        .size:           8
        .value_kind:     global_buffer
      - .actual_access:  read_only
        .address_space:  global
        .offset:         64
        .size:           8
        .value_kind:     global_buffer
      - .address_space:  global
        .offset:         72
        .size:           8
        .value_kind:     global_buffer
      - .offset:         80
        .size:           4
        .value_kind:     by_value
      - .actual_access:  read_only
        .address_space:  global
        .offset:         88
        .size:           8
        .value_kind:     global_buffer
      - .actual_access:  read_only
        .address_space:  global
        .offset:         96
        .size:           8
        .value_kind:     global_buffer
      - .actual_access:  read_only
        .address_space:  global
        .offset:         104
        .size:           8
        .value_kind:     global_buffer
      - .address_space:  global
        .offset:         112
        .size:           8
        .value_kind:     global_buffer
      - .offset:         120
        .size:           4
        .value_kind:     by_value
      - .address_space:  global
        .offset:         128
        .size:           8
        .value_kind:     global_buffer
    .group_segment_fixed_size: 0
    .kernarg_segment_align: 8
    .kernarg_segment_size: 136
    .language:       OpenCL C
    .language_version:
      - 2
      - 0
    .max_flat_workgroup_size: 1024
    .name:           _ZN9rocsparseL25kernel_correction_no_normILi1024ELi8EfiiEEvT3_T2_PKS2_S4_PKS1_PKT1_21rocsparse_index_base_S4_S4_S6_PS7_SA_S4_S4_S6_SB_SA_SB_
    .private_segment_fixed_size: 0
    .sgpr_count:     48
    .sgpr_spill_count: 0
    .symbol:         _ZN9rocsparseL25kernel_correction_no_normILi1024ELi8EfiiEEvT3_T2_PKS2_S4_PKS1_PKT1_21rocsparse_index_base_S4_S4_S6_PS7_SA_S4_S4_S6_SB_SA_SB_.kd
    .uniform_work_group_size: 1
    .uses_dynamic_stack: false
    .vgpr_count:     34
    .vgpr_spill_count: 0
    .wavefront_size: 32
    .workgroup_processor_mode: 1
  - .args:
      - .offset:         0
        .size:           4
        .value_kind:     by_value
      - .offset:         4
        .size:           4
        .value_kind:     by_value
      - .actual_access:  read_only
        .address_space:  global
        .offset:         8
        .size:           8
        .value_kind:     global_buffer
      - .actual_access:  read_only
        .address_space:  global
        .offset:         16
        .size:           8
        .value_kind:     global_buffer
      - .actual_access:  read_only
        .address_space:  global
        .offset:         24
        .size:           8
        .value_kind:     global_buffer
      - .actual_access:  read_only
        .address_space:  global
        .offset:         32
        .size:           8
        .value_kind:     global_buffer
      - .offset:         40
        .size:           4
        .value_kind:     by_value
      - .actual_access:  read_only
        .address_space:  global
        .offset:         48
        .size:           8
        .value_kind:     global_buffer
      - .actual_access:  read_only
        .address_space:  global
        .offset:         56
        .size:           8
        .value_kind:     global_buffer
      - .actual_access:  read_only
        .address_space:  global
        .offset:         64
        .size:           8
        .value_kind:     global_buffer
      - .address_space:  global
        .offset:         72
        .size:           8
        .value_kind:     global_buffer
      - .offset:         80
        .size:           4
        .value_kind:     by_value
      - .actual_access:  read_only
        .address_space:  global
        .offset:         88
        .size:           8
        .value_kind:     global_buffer
      - .actual_access:  read_only
        .address_space:  global
        .offset:         96
        .size:           8
        .value_kind:     global_buffer
      - .actual_access:  read_only
        .address_space:  global
        .offset:         104
        .size:           8
        .value_kind:     global_buffer
      - .address_space:  global
        .offset:         112
        .size:           8
        .value_kind:     global_buffer
      - .offset:         120
        .size:           4
        .value_kind:     by_value
      - .address_space:  global
        .offset:         128
        .size:           8
        .value_kind:     global_buffer
    .group_segment_fixed_size: 0
    .kernarg_segment_align: 8
    .kernarg_segment_size: 136
    .language:       OpenCL C
    .language_version:
      - 2
      - 0
    .max_flat_workgroup_size: 1024
    .name:           _ZN9rocsparseL25kernel_correction_no_normILi1024ELi16EfiiEEvT3_T2_PKS2_S4_PKS1_PKT1_21rocsparse_index_base_S4_S4_S6_PS7_SA_S4_S4_S6_SB_SA_SB_
    .private_segment_fixed_size: 0
    .sgpr_count:     48
    .sgpr_spill_count: 0
    .symbol:         _ZN9rocsparseL25kernel_correction_no_normILi1024ELi16EfiiEEvT3_T2_PKS2_S4_PKS1_PKT1_21rocsparse_index_base_S4_S4_S6_PS7_SA_S4_S4_S6_SB_SA_SB_.kd
    .uniform_work_group_size: 1
    .uses_dynamic_stack: false
    .vgpr_count:     34
    .vgpr_spill_count: 0
    .wavefront_size: 32
    .workgroup_processor_mode: 1
  - .args:
      - .offset:         0
        .size:           4
        .value_kind:     by_value
      - .offset:         4
        .size:           4
        .value_kind:     by_value
      - .actual_access:  read_only
        .address_space:  global
        .offset:         8
        .size:           8
        .value_kind:     global_buffer
      - .actual_access:  read_only
        .address_space:  global
        .offset:         16
        .size:           8
        .value_kind:     global_buffer
      - .actual_access:  read_only
        .address_space:  global
        .offset:         24
        .size:           8
        .value_kind:     global_buffer
      - .actual_access:  read_only
        .address_space:  global
        .offset:         32
        .size:           8
        .value_kind:     global_buffer
      - .offset:         40
        .size:           4
        .value_kind:     by_value
      - .actual_access:  read_only
        .address_space:  global
        .offset:         48
        .size:           8
        .value_kind:     global_buffer
      - .actual_access:  read_only
        .address_space:  global
        .offset:         56
        .size:           8
        .value_kind:     global_buffer
      - .actual_access:  read_only
        .address_space:  global
        .offset:         64
        .size:           8
        .value_kind:     global_buffer
      - .address_space:  global
        .offset:         72
        .size:           8
        .value_kind:     global_buffer
      - .offset:         80
        .size:           4
        .value_kind:     by_value
      - .actual_access:  read_only
        .address_space:  global
        .offset:         88
        .size:           8
        .value_kind:     global_buffer
      - .actual_access:  read_only
        .address_space:  global
        .offset:         96
        .size:           8
        .value_kind:     global_buffer
      - .actual_access:  read_only
        .address_space:  global
        .offset:         104
        .size:           8
        .value_kind:     global_buffer
      - .address_space:  global
        .offset:         112
        .size:           8
        .value_kind:     global_buffer
      - .offset:         120
        .size:           4
        .value_kind:     by_value
      - .address_space:  global
        .offset:         128
        .size:           8
        .value_kind:     global_buffer
    .group_segment_fixed_size: 0
    .kernarg_segment_align: 8
    .kernarg_segment_size: 136
    .language:       OpenCL C
    .language_version:
      - 2
      - 0
    .max_flat_workgroup_size: 1024
    .name:           _ZN9rocsparseL25kernel_correction_no_normILi1024ELi32EfiiEEvT3_T2_PKS2_S4_PKS1_PKT1_21rocsparse_index_base_S4_S4_S6_PS7_SA_S4_S4_S6_SB_SA_SB_
    .private_segment_fixed_size: 0
    .sgpr_count:     48
    .sgpr_spill_count: 0
    .symbol:         _ZN9rocsparseL25kernel_correction_no_normILi1024ELi32EfiiEEvT3_T2_PKS2_S4_PKS1_PKT1_21rocsparse_index_base_S4_S4_S6_PS7_SA_S4_S4_S6_SB_SA_SB_.kd
    .uniform_work_group_size: 1
    .uses_dynamic_stack: false
    .vgpr_count:     34
    .vgpr_spill_count: 0
    .wavefront_size: 32
    .workgroup_processor_mode: 1
  - .args:
      - .offset:         0
        .size:           4
        .value_kind:     by_value
      - .offset:         4
        .size:           4
        .value_kind:     by_value
      - .actual_access:  read_only
        .address_space:  global
        .offset:         8
        .size:           8
        .value_kind:     global_buffer
      - .actual_access:  read_only
        .address_space:  global
        .offset:         16
        .size:           8
        .value_kind:     global_buffer
      - .actual_access:  read_only
        .address_space:  global
        .offset:         24
        .size:           8
        .value_kind:     global_buffer
      - .actual_access:  read_only
        .address_space:  global
        .offset:         32
        .size:           8
        .value_kind:     global_buffer
      - .offset:         40
        .size:           4
        .value_kind:     by_value
      - .actual_access:  read_only
        .address_space:  global
        .offset:         48
        .size:           8
        .value_kind:     global_buffer
      - .actual_access:  read_only
        .address_space:  global
        .offset:         56
        .size:           8
        .value_kind:     global_buffer
      - .actual_access:  read_only
        .address_space:  global
        .offset:         64
        .size:           8
        .value_kind:     global_buffer
      - .address_space:  global
        .offset:         72
        .size:           8
        .value_kind:     global_buffer
      - .offset:         80
        .size:           4
        .value_kind:     by_value
      - .actual_access:  read_only
        .address_space:  global
        .offset:         88
        .size:           8
        .value_kind:     global_buffer
      - .actual_access:  read_only
        .address_space:  global
        .offset:         96
        .size:           8
        .value_kind:     global_buffer
      - .actual_access:  read_only
        .address_space:  global
        .offset:         104
        .size:           8
        .value_kind:     global_buffer
      - .address_space:  global
        .offset:         112
        .size:           8
        .value_kind:     global_buffer
      - .offset:         120
        .size:           4
        .value_kind:     by_value
      - .address_space:  global
        .offset:         128
        .size:           8
        .value_kind:     global_buffer
    .group_segment_fixed_size: 0
    .kernarg_segment_align: 8
    .kernarg_segment_size: 136
    .language:       OpenCL C
    .language_version:
      - 2
      - 0
    .max_flat_workgroup_size: 1024
    .name:           _ZN9rocsparseL25kernel_correction_no_normILi1024ELi64EfiiEEvT3_T2_PKS2_S4_PKS1_PKT1_21rocsparse_index_base_S4_S4_S6_PS7_SA_S4_S4_S6_SB_SA_SB_
    .private_segment_fixed_size: 0
    .sgpr_count:     48
    .sgpr_spill_count: 0
    .symbol:         _ZN9rocsparseL25kernel_correction_no_normILi1024ELi64EfiiEEvT3_T2_PKS2_S4_PKS1_PKT1_21rocsparse_index_base_S4_S4_S6_PS7_SA_S4_S4_S6_SB_SA_SB_.kd
    .uniform_work_group_size: 1
    .uses_dynamic_stack: false
    .vgpr_count:     34
    .vgpr_spill_count: 0
    .wavefront_size: 32
    .workgroup_processor_mode: 1
  - .args:
      - .offset:         0
        .size:           4
        .value_kind:     by_value
      - .offset:         4
        .size:           4
        .value_kind:     by_value
      - .actual_access:  read_only
        .address_space:  global
        .offset:         8
        .size:           8
        .value_kind:     global_buffer
      - .actual_access:  read_only
        .address_space:  global
        .offset:         16
        .size:           8
        .value_kind:     global_buffer
      - .actual_access:  read_only
        .address_space:  global
        .offset:         24
        .size:           8
        .value_kind:     global_buffer
      - .actual_access:  read_only
        .address_space:  global
        .offset:         32
        .size:           8
        .value_kind:     global_buffer
      - .offset:         40
        .size:           4
        .value_kind:     by_value
      - .actual_access:  read_only
        .address_space:  global
        .offset:         48
        .size:           8
        .value_kind:     global_buffer
      - .actual_access:  read_only
        .address_space:  global
        .offset:         56
        .size:           8
        .value_kind:     global_buffer
      - .actual_access:  read_only
        .address_space:  global
        .offset:         64
        .size:           8
        .value_kind:     global_buffer
      - .address_space:  global
        .offset:         72
        .size:           8
        .value_kind:     global_buffer
      - .offset:         80
        .size:           4
        .value_kind:     by_value
      - .actual_access:  read_only
        .address_space:  global
        .offset:         88
        .size:           8
        .value_kind:     global_buffer
      - .actual_access:  read_only
        .address_space:  global
        .offset:         96
        .size:           8
        .value_kind:     global_buffer
      - .actual_access:  read_only
        .address_space:  global
        .offset:         104
        .size:           8
        .value_kind:     global_buffer
      - .address_space:  global
        .offset:         112
        .size:           8
        .value_kind:     global_buffer
      - .offset:         120
        .size:           4
        .value_kind:     by_value
      - .address_space:  global
        .offset:         128
        .size:           8
        .value_kind:     global_buffer
      - .address_space:  global
        .offset:         136
        .size:           8
        .value_kind:     global_buffer
      - .address_space:  global
        .offset:         144
        .size:           8
        .value_kind:     global_buffer
    .group_segment_fixed_size: 4096
    .kernarg_segment_align: 8
    .kernarg_segment_size: 152
    .language:       OpenCL C
    .language_version:
      - 2
      - 0
    .max_flat_workgroup_size: 1024
    .name:           _ZN9rocsparseL17kernel_correctionILi1024ELi1EfiiEEvT3_T2_PKS2_S4_PKS1_PKT1_21rocsparse_index_base_S4_S4_S6_PS7_SA_S4_S4_S6_SB_SA_SB_PNS_15floating_traitsIS7_E6data_tEPKSE_
    .private_segment_fixed_size: 0
    .sgpr_count:     53
    .sgpr_spill_count: 0
    .symbol:         _ZN9rocsparseL17kernel_correctionILi1024ELi1EfiiEEvT3_T2_PKS2_S4_PKS1_PKT1_21rocsparse_index_base_S4_S4_S6_PS7_SA_S4_S4_S6_SB_SA_SB_PNS_15floating_traitsIS7_E6data_tEPKSE_.kd
    .uniform_work_group_size: 1
    .uses_dynamic_stack: false
    .vgpr_count:     35
    .vgpr_spill_count: 0
    .wavefront_size: 32
    .workgroup_processor_mode: 1
  - .args:
      - .offset:         0
        .size:           4
        .value_kind:     by_value
      - .offset:         4
        .size:           4
        .value_kind:     by_value
      - .actual_access:  read_only
        .address_space:  global
        .offset:         8
        .size:           8
        .value_kind:     global_buffer
      - .actual_access:  read_only
        .address_space:  global
        .offset:         16
        .size:           8
        .value_kind:     global_buffer
      - .actual_access:  read_only
        .address_space:  global
        .offset:         24
        .size:           8
        .value_kind:     global_buffer
      - .actual_access:  read_only
        .address_space:  global
        .offset:         32
        .size:           8
        .value_kind:     global_buffer
      - .offset:         40
        .size:           4
        .value_kind:     by_value
      - .actual_access:  read_only
        .address_space:  global
        .offset:         48
        .size:           8
        .value_kind:     global_buffer
      - .actual_access:  read_only
        .address_space:  global
        .offset:         56
        .size:           8
        .value_kind:     global_buffer
      - .actual_access:  read_only
        .address_space:  global
        .offset:         64
        .size:           8
        .value_kind:     global_buffer
      - .address_space:  global
        .offset:         72
        .size:           8
        .value_kind:     global_buffer
      - .offset:         80
        .size:           4
        .value_kind:     by_value
      - .actual_access:  read_only
        .address_space:  global
        .offset:         88
        .size:           8
        .value_kind:     global_buffer
      - .actual_access:  read_only
        .address_space:  global
        .offset:         96
        .size:           8
        .value_kind:     global_buffer
      - .actual_access:  read_only
        .address_space:  global
        .offset:         104
        .size:           8
        .value_kind:     global_buffer
      - .address_space:  global
        .offset:         112
        .size:           8
        .value_kind:     global_buffer
      - .offset:         120
        .size:           4
        .value_kind:     by_value
      - .address_space:  global
        .offset:         128
        .size:           8
        .value_kind:     global_buffer
      - .address_space:  global
        .offset:         136
        .size:           8
        .value_kind:     global_buffer
      - .address_space:  global
        .offset:         144
        .size:           8
        .value_kind:     global_buffer
    .group_segment_fixed_size: 2048
    .kernarg_segment_align: 8
    .kernarg_segment_size: 152
    .language:       OpenCL C
    .language_version:
      - 2
      - 0
    .max_flat_workgroup_size: 1024
    .name:           _ZN9rocsparseL17kernel_correctionILi1024ELi2EfiiEEvT3_T2_PKS2_S4_PKS1_PKT1_21rocsparse_index_base_S4_S4_S6_PS7_SA_S4_S4_S6_SB_SA_SB_PNS_15floating_traitsIS7_E6data_tEPKSE_
    .private_segment_fixed_size: 0
    .sgpr_count:     53
    .sgpr_spill_count: 0
    .symbol:         _ZN9rocsparseL17kernel_correctionILi1024ELi2EfiiEEvT3_T2_PKS2_S4_PKS1_PKT1_21rocsparse_index_base_S4_S4_S6_PS7_SA_S4_S4_S6_SB_SA_SB_PNS_15floating_traitsIS7_E6data_tEPKSE_.kd
    .uniform_work_group_size: 1
    .uses_dynamic_stack: false
    .vgpr_count:     38
    .vgpr_spill_count: 0
    .wavefront_size: 32
    .workgroup_processor_mode: 1
  - .args:
      - .offset:         0
        .size:           4
        .value_kind:     by_value
      - .offset:         4
        .size:           4
        .value_kind:     by_value
      - .actual_access:  read_only
        .address_space:  global
        .offset:         8
        .size:           8
        .value_kind:     global_buffer
      - .actual_access:  read_only
        .address_space:  global
        .offset:         16
        .size:           8
        .value_kind:     global_buffer
      - .actual_access:  read_only
        .address_space:  global
        .offset:         24
        .size:           8
        .value_kind:     global_buffer
      - .actual_access:  read_only
        .address_space:  global
        .offset:         32
        .size:           8
        .value_kind:     global_buffer
      - .offset:         40
        .size:           4
        .value_kind:     by_value
      - .actual_access:  read_only
        .address_space:  global
        .offset:         48
        .size:           8
        .value_kind:     global_buffer
      - .actual_access:  read_only
        .address_space:  global
        .offset:         56
        .size:           8
        .value_kind:     global_buffer
      - .actual_access:  read_only
        .address_space:  global
        .offset:         64
        .size:           8
        .value_kind:     global_buffer
      - .address_space:  global
        .offset:         72
        .size:           8
        .value_kind:     global_buffer
      - .offset:         80
        .size:           4
        .value_kind:     by_value
      - .actual_access:  read_only
        .address_space:  global
        .offset:         88
        .size:           8
        .value_kind:     global_buffer
      - .actual_access:  read_only
        .address_space:  global
        .offset:         96
        .size:           8
        .value_kind:     global_buffer
      - .actual_access:  read_only
        .address_space:  global
        .offset:         104
        .size:           8
        .value_kind:     global_buffer
      - .address_space:  global
        .offset:         112
        .size:           8
        .value_kind:     global_buffer
      - .offset:         120
        .size:           4
        .value_kind:     by_value
      - .address_space:  global
        .offset:         128
        .size:           8
        .value_kind:     global_buffer
      - .address_space:  global
        .offset:         136
        .size:           8
        .value_kind:     global_buffer
      - .address_space:  global
        .offset:         144
        .size:           8
        .value_kind:     global_buffer
    .group_segment_fixed_size: 1024
    .kernarg_segment_align: 8
    .kernarg_segment_size: 152
    .language:       OpenCL C
    .language_version:
      - 2
      - 0
    .max_flat_workgroup_size: 1024
    .name:           _ZN9rocsparseL17kernel_correctionILi1024ELi4EfiiEEvT3_T2_PKS2_S4_PKS1_PKT1_21rocsparse_index_base_S4_S4_S6_PS7_SA_S4_S4_S6_SB_SA_SB_PNS_15floating_traitsIS7_E6data_tEPKSE_
    .private_segment_fixed_size: 0
    .sgpr_count:     53
    .sgpr_spill_count: 0
    .symbol:         _ZN9rocsparseL17kernel_correctionILi1024ELi4EfiiEEvT3_T2_PKS2_S4_PKS1_PKT1_21rocsparse_index_base_S4_S4_S6_PS7_SA_S4_S4_S6_SB_SA_SB_PNS_15floating_traitsIS7_E6data_tEPKSE_.kd
    .uniform_work_group_size: 1
    .uses_dynamic_stack: false
    .vgpr_count:     38
    .vgpr_spill_count: 0
    .wavefront_size: 32
    .workgroup_processor_mode: 1
  - .args:
      - .offset:         0
        .size:           4
        .value_kind:     by_value
      - .offset:         4
        .size:           4
        .value_kind:     by_value
      - .actual_access:  read_only
        .address_space:  global
        .offset:         8
        .size:           8
        .value_kind:     global_buffer
      - .actual_access:  read_only
        .address_space:  global
        .offset:         16
        .size:           8
        .value_kind:     global_buffer
      - .actual_access:  read_only
        .address_space:  global
        .offset:         24
        .size:           8
        .value_kind:     global_buffer
      - .actual_access:  read_only
        .address_space:  global
        .offset:         32
        .size:           8
        .value_kind:     global_buffer
      - .offset:         40
        .size:           4
        .value_kind:     by_value
      - .actual_access:  read_only
        .address_space:  global
        .offset:         48
        .size:           8
        .value_kind:     global_buffer
      - .actual_access:  read_only
        .address_space:  global
        .offset:         56
        .size:           8
        .value_kind:     global_buffer
      - .actual_access:  read_only
        .address_space:  global
        .offset:         64
        .size:           8
        .value_kind:     global_buffer
      - .address_space:  global
        .offset:         72
        .size:           8
        .value_kind:     global_buffer
      - .offset:         80
        .size:           4
        .value_kind:     by_value
      - .actual_access:  read_only
        .address_space:  global
        .offset:         88
        .size:           8
        .value_kind:     global_buffer
      - .actual_access:  read_only
        .address_space:  global
        .offset:         96
        .size:           8
        .value_kind:     global_buffer
      - .actual_access:  read_only
        .address_space:  global
        .offset:         104
        .size:           8
        .value_kind:     global_buffer
      - .address_space:  global
        .offset:         112
        .size:           8
        .value_kind:     global_buffer
      - .offset:         120
        .size:           4
        .value_kind:     by_value
      - .address_space:  global
        .offset:         128
        .size:           8
        .value_kind:     global_buffer
      - .address_space:  global
        .offset:         136
        .size:           8
        .value_kind:     global_buffer
      - .address_space:  global
        .offset:         144
        .size:           8
        .value_kind:     global_buffer
    .group_segment_fixed_size: 512
    .kernarg_segment_align: 8
    .kernarg_segment_size: 152
    .language:       OpenCL C
    .language_version:
      - 2
      - 0
    .max_flat_workgroup_size: 1024
    .name:           _ZN9rocsparseL17kernel_correctionILi1024ELi8EfiiEEvT3_T2_PKS2_S4_PKS1_PKT1_21rocsparse_index_base_S4_S4_S6_PS7_SA_S4_S4_S6_SB_SA_SB_PNS_15floating_traitsIS7_E6data_tEPKSE_
    .private_segment_fixed_size: 0
    .sgpr_count:     53
    .sgpr_spill_count: 0
    .symbol:         _ZN9rocsparseL17kernel_correctionILi1024ELi8EfiiEEvT3_T2_PKS2_S4_PKS1_PKT1_21rocsparse_index_base_S4_S4_S6_PS7_SA_S4_S4_S6_SB_SA_SB_PNS_15floating_traitsIS7_E6data_tEPKSE_.kd
    .uniform_work_group_size: 1
    .uses_dynamic_stack: false
    .vgpr_count:     38
    .vgpr_spill_count: 0
    .wavefront_size: 32
    .workgroup_processor_mode: 1
  - .args:
      - .offset:         0
        .size:           4
        .value_kind:     by_value
      - .offset:         4
        .size:           4
        .value_kind:     by_value
      - .actual_access:  read_only
        .address_space:  global
        .offset:         8
        .size:           8
        .value_kind:     global_buffer
      - .actual_access:  read_only
        .address_space:  global
        .offset:         16
        .size:           8
        .value_kind:     global_buffer
      - .actual_access:  read_only
        .address_space:  global
        .offset:         24
        .size:           8
        .value_kind:     global_buffer
      - .actual_access:  read_only
        .address_space:  global
        .offset:         32
        .size:           8
        .value_kind:     global_buffer
      - .offset:         40
        .size:           4
        .value_kind:     by_value
      - .actual_access:  read_only
        .address_space:  global
        .offset:         48
        .size:           8
        .value_kind:     global_buffer
      - .actual_access:  read_only
        .address_space:  global
        .offset:         56
        .size:           8
        .value_kind:     global_buffer
      - .actual_access:  read_only
        .address_space:  global
        .offset:         64
        .size:           8
        .value_kind:     global_buffer
      - .address_space:  global
        .offset:         72
        .size:           8
        .value_kind:     global_buffer
      - .offset:         80
        .size:           4
        .value_kind:     by_value
      - .actual_access:  read_only
        .address_space:  global
        .offset:         88
        .size:           8
        .value_kind:     global_buffer
      - .actual_access:  read_only
        .address_space:  global
        .offset:         96
        .size:           8
        .value_kind:     global_buffer
      - .actual_access:  read_only
        .address_space:  global
        .offset:         104
        .size:           8
        .value_kind:     global_buffer
      - .address_space:  global
        .offset:         112
        .size:           8
        .value_kind:     global_buffer
      - .offset:         120
        .size:           4
        .value_kind:     by_value
      - .address_space:  global
        .offset:         128
        .size:           8
        .value_kind:     global_buffer
      - .address_space:  global
        .offset:         136
        .size:           8
        .value_kind:     global_buffer
      - .address_space:  global
        .offset:         144
        .size:           8
        .value_kind:     global_buffer
    .group_segment_fixed_size: 256
    .kernarg_segment_align: 8
    .kernarg_segment_size: 152
    .language:       OpenCL C
    .language_version:
      - 2
      - 0
    .max_flat_workgroup_size: 1024
    .name:           _ZN9rocsparseL17kernel_correctionILi1024ELi16EfiiEEvT3_T2_PKS2_S4_PKS1_PKT1_21rocsparse_index_base_S4_S4_S6_PS7_SA_S4_S4_S6_SB_SA_SB_PNS_15floating_traitsIS7_E6data_tEPKSE_
    .private_segment_fixed_size: 0
    .sgpr_count:     53
    .sgpr_spill_count: 0
    .symbol:         _ZN9rocsparseL17kernel_correctionILi1024ELi16EfiiEEvT3_T2_PKS2_S4_PKS1_PKT1_21rocsparse_index_base_S4_S4_S6_PS7_SA_S4_S4_S6_SB_SA_SB_PNS_15floating_traitsIS7_E6data_tEPKSE_.kd
    .uniform_work_group_size: 1
    .uses_dynamic_stack: false
    .vgpr_count:     38
    .vgpr_spill_count: 0
    .wavefront_size: 32
    .workgroup_processor_mode: 1
  - .args:
      - .offset:         0
        .size:           4
        .value_kind:     by_value
      - .offset:         4
        .size:           4
        .value_kind:     by_value
      - .actual_access:  read_only
        .address_space:  global
        .offset:         8
        .size:           8
        .value_kind:     global_buffer
      - .actual_access:  read_only
        .address_space:  global
        .offset:         16
        .size:           8
        .value_kind:     global_buffer
      - .actual_access:  read_only
        .address_space:  global
        .offset:         24
        .size:           8
        .value_kind:     global_buffer
      - .actual_access:  read_only
        .address_space:  global
        .offset:         32
        .size:           8
        .value_kind:     global_buffer
      - .offset:         40
        .size:           4
        .value_kind:     by_value
      - .actual_access:  read_only
        .address_space:  global
        .offset:         48
        .size:           8
        .value_kind:     global_buffer
      - .actual_access:  read_only
        .address_space:  global
        .offset:         56
        .size:           8
        .value_kind:     global_buffer
      - .actual_access:  read_only
        .address_space:  global
        .offset:         64
        .size:           8
        .value_kind:     global_buffer
      - .address_space:  global
        .offset:         72
        .size:           8
        .value_kind:     global_buffer
      - .offset:         80
        .size:           4
        .value_kind:     by_value
      - .actual_access:  read_only
        .address_space:  global
        .offset:         88
        .size:           8
        .value_kind:     global_buffer
      - .actual_access:  read_only
        .address_space:  global
        .offset:         96
        .size:           8
        .value_kind:     global_buffer
      - .actual_access:  read_only
        .address_space:  global
        .offset:         104
        .size:           8
        .value_kind:     global_buffer
      - .address_space:  global
        .offset:         112
        .size:           8
        .value_kind:     global_buffer
      - .offset:         120
        .size:           4
        .value_kind:     by_value
      - .address_space:  global
        .offset:         128
        .size:           8
        .value_kind:     global_buffer
      - .address_space:  global
        .offset:         136
        .size:           8
        .value_kind:     global_buffer
      - .address_space:  global
        .offset:         144
        .size:           8
        .value_kind:     global_buffer
    .group_segment_fixed_size: 128
    .kernarg_segment_align: 8
    .kernarg_segment_size: 152
    .language:       OpenCL C
    .language_version:
      - 2
      - 0
    .max_flat_workgroup_size: 1024
    .name:           _ZN9rocsparseL17kernel_correctionILi1024ELi32EfiiEEvT3_T2_PKS2_S4_PKS1_PKT1_21rocsparse_index_base_S4_S4_S6_PS7_SA_S4_S4_S6_SB_SA_SB_PNS_15floating_traitsIS7_E6data_tEPKSE_
    .private_segment_fixed_size: 0
    .sgpr_count:     53
    .sgpr_spill_count: 0
    .symbol:         _ZN9rocsparseL17kernel_correctionILi1024ELi32EfiiEEvT3_T2_PKS2_S4_PKS1_PKT1_21rocsparse_index_base_S4_S4_S6_PS7_SA_S4_S4_S6_SB_SA_SB_PNS_15floating_traitsIS7_E6data_tEPKSE_.kd
    .uniform_work_group_size: 1
    .uses_dynamic_stack: false
    .vgpr_count:     38
    .vgpr_spill_count: 0
    .wavefront_size: 32
    .workgroup_processor_mode: 1
  - .args:
      - .offset:         0
        .size:           4
        .value_kind:     by_value
      - .offset:         4
        .size:           4
        .value_kind:     by_value
      - .actual_access:  read_only
        .address_space:  global
        .offset:         8
        .size:           8
        .value_kind:     global_buffer
      - .actual_access:  read_only
        .address_space:  global
        .offset:         16
        .size:           8
        .value_kind:     global_buffer
      - .actual_access:  read_only
        .address_space:  global
        .offset:         24
        .size:           8
        .value_kind:     global_buffer
      - .actual_access:  read_only
        .address_space:  global
        .offset:         32
        .size:           8
        .value_kind:     global_buffer
      - .offset:         40
        .size:           4
        .value_kind:     by_value
      - .actual_access:  read_only
        .address_space:  global
        .offset:         48
        .size:           8
        .value_kind:     global_buffer
      - .actual_access:  read_only
        .address_space:  global
        .offset:         56
        .size:           8
        .value_kind:     global_buffer
      - .actual_access:  read_only
        .address_space:  global
        .offset:         64
        .size:           8
        .value_kind:     global_buffer
      - .address_space:  global
        .offset:         72
        .size:           8
        .value_kind:     global_buffer
      - .offset:         80
        .size:           4
        .value_kind:     by_value
      - .actual_access:  read_only
        .address_space:  global
        .offset:         88
        .size:           8
        .value_kind:     global_buffer
      - .actual_access:  read_only
        .address_space:  global
        .offset:         96
        .size:           8
        .value_kind:     global_buffer
      - .actual_access:  read_only
        .address_space:  global
        .offset:         104
        .size:           8
        .value_kind:     global_buffer
      - .address_space:  global
        .offset:         112
        .size:           8
        .value_kind:     global_buffer
      - .offset:         120
        .size:           4
        .value_kind:     by_value
      - .address_space:  global
        .offset:         128
        .size:           8
        .value_kind:     global_buffer
      - .address_space:  global
        .offset:         136
        .size:           8
        .value_kind:     global_buffer
      - .address_space:  global
        .offset:         144
        .size:           8
        .value_kind:     global_buffer
    .group_segment_fixed_size: 64
    .kernarg_segment_align: 8
    .kernarg_segment_size: 152
    .language:       OpenCL C
    .language_version:
      - 2
      - 0
    .max_flat_workgroup_size: 1024
    .name:           _ZN9rocsparseL17kernel_correctionILi1024ELi64EfiiEEvT3_T2_PKS2_S4_PKS1_PKT1_21rocsparse_index_base_S4_S4_S6_PS7_SA_S4_S4_S6_SB_SA_SB_PNS_15floating_traitsIS7_E6data_tEPKSE_
    .private_segment_fixed_size: 0
    .sgpr_count:     53
    .sgpr_spill_count: 0
    .symbol:         _ZN9rocsparseL17kernel_correctionILi1024ELi64EfiiEEvT3_T2_PKS2_S4_PKS1_PKT1_21rocsparse_index_base_S4_S4_S6_PS7_SA_S4_S4_S6_SB_SA_SB_PNS_15floating_traitsIS7_E6data_tEPKSE_.kd
    .uniform_work_group_size: 1
    .uses_dynamic_stack: false
    .vgpr_count:     38
    .vgpr_spill_count: 0
    .wavefront_size: 32
    .workgroup_processor_mode: 1
  - .args:
      - .offset:         0
        .size:           4
        .value_kind:     by_value
      - .offset:         4
        .size:           4
        .value_kind:     by_value
      - .actual_access:  read_only
        .address_space:  global
        .offset:         8
        .size:           8
        .value_kind:     global_buffer
      - .actual_access:  read_only
        .address_space:  global
        .offset:         16
        .size:           8
        .value_kind:     global_buffer
      - .actual_access:  read_only
        .address_space:  global
        .offset:         24
        .size:           8
        .value_kind:     global_buffer
      - .actual_access:  read_only
        .address_space:  global
        .offset:         32
        .size:           8
        .value_kind:     global_buffer
      - .offset:         40
        .size:           4
        .value_kind:     by_value
      - .actual_access:  read_only
        .address_space:  global
        .offset:         48
        .size:           8
        .value_kind:     global_buffer
      - .actual_access:  read_only
        .address_space:  global
        .offset:         56
        .size:           8
        .value_kind:     global_buffer
      - .actual_access:  read_only
        .address_space:  global
        .offset:         64
        .size:           8
        .value_kind:     global_buffer
      - .address_space:  global
        .offset:         72
        .size:           8
        .value_kind:     global_buffer
      - .offset:         80
        .size:           4
        .value_kind:     by_value
      - .actual_access:  read_only
        .address_space:  global
        .offset:         88
        .size:           8
        .value_kind:     global_buffer
      - .actual_access:  read_only
        .address_space:  global
        .offset:         96
        .size:           8
        .value_kind:     global_buffer
      - .actual_access:  read_only
        .address_space:  global
        .offset:         104
        .size:           8
        .value_kind:     global_buffer
      - .address_space:  global
        .offset:         112
        .size:           8
        .value_kind:     global_buffer
      - .offset:         120
        .size:           4
        .value_kind:     by_value
      - .address_space:  global
        .offset:         128
        .size:           8
        .value_kind:     global_buffer
    .group_segment_fixed_size: 0
    .kernarg_segment_align: 8
    .kernarg_segment_size: 136
    .language:       OpenCL C
    .language_version:
      - 2
      - 0
    .max_flat_workgroup_size: 1024
    .name:           _ZN9rocsparseL25kernel_correction_no_normILi1024ELi1EdiiEEvT3_T2_PKS2_S4_PKS1_PKT1_21rocsparse_index_base_S4_S4_S6_PS7_SA_S4_S4_S6_SB_SA_SB_
    .private_segment_fixed_size: 0
    .sgpr_count:     48
    .sgpr_spill_count: 0
    .symbol:         _ZN9rocsparseL25kernel_correction_no_normILi1024ELi1EdiiEEvT3_T2_PKS2_S4_PKS1_PKT1_21rocsparse_index_base_S4_S4_S6_PS7_SA_S4_S4_S6_SB_SA_SB_.kd
    .uniform_work_group_size: 1
    .uses_dynamic_stack: false
    .vgpr_count:     30
    .vgpr_spill_count: 0
    .wavefront_size: 32
    .workgroup_processor_mode: 1
  - .args:
      - .offset:         0
        .size:           4
        .value_kind:     by_value
      - .offset:         4
        .size:           4
        .value_kind:     by_value
      - .actual_access:  read_only
        .address_space:  global
        .offset:         8
        .size:           8
        .value_kind:     global_buffer
      - .actual_access:  read_only
        .address_space:  global
        .offset:         16
        .size:           8
        .value_kind:     global_buffer
      - .actual_access:  read_only
        .address_space:  global
        .offset:         24
        .size:           8
        .value_kind:     global_buffer
      - .actual_access:  read_only
        .address_space:  global
        .offset:         32
        .size:           8
        .value_kind:     global_buffer
      - .offset:         40
        .size:           4
        .value_kind:     by_value
      - .actual_access:  read_only
        .address_space:  global
        .offset:         48
        .size:           8
        .value_kind:     global_buffer
      - .actual_access:  read_only
        .address_space:  global
        .offset:         56
        .size:           8
        .value_kind:     global_buffer
      - .actual_access:  read_only
        .address_space:  global
        .offset:         64
        .size:           8
        .value_kind:     global_buffer
      - .address_space:  global
        .offset:         72
        .size:           8
        .value_kind:     global_buffer
      - .offset:         80
        .size:           4
        .value_kind:     by_value
      - .actual_access:  read_only
        .address_space:  global
        .offset:         88
        .size:           8
        .value_kind:     global_buffer
      - .actual_access:  read_only
        .address_space:  global
        .offset:         96
        .size:           8
        .value_kind:     global_buffer
      - .actual_access:  read_only
        .address_space:  global
        .offset:         104
        .size:           8
        .value_kind:     global_buffer
      - .address_space:  global
        .offset:         112
        .size:           8
        .value_kind:     global_buffer
      - .offset:         120
        .size:           4
        .value_kind:     by_value
      - .address_space:  global
        .offset:         128
        .size:           8
        .value_kind:     global_buffer
    .group_segment_fixed_size: 0
    .kernarg_segment_align: 8
    .kernarg_segment_size: 136
    .language:       OpenCL C
    .language_version:
      - 2
      - 0
    .max_flat_workgroup_size: 1024
    .name:           _ZN9rocsparseL25kernel_correction_no_normILi1024ELi2EdiiEEvT3_T2_PKS2_S4_PKS1_PKT1_21rocsparse_index_base_S4_S4_S6_PS7_SA_S4_S4_S6_SB_SA_SB_
    .private_segment_fixed_size: 0
    .sgpr_count:     48
    .sgpr_spill_count: 0
    .symbol:         _ZN9rocsparseL25kernel_correction_no_normILi1024ELi2EdiiEEvT3_T2_PKS2_S4_PKS1_PKT1_21rocsparse_index_base_S4_S4_S6_PS7_SA_S4_S4_S6_SB_SA_SB_.kd
    .uniform_work_group_size: 1
    .uses_dynamic_stack: false
    .vgpr_count:     31
    .vgpr_spill_count: 0
    .wavefront_size: 32
    .workgroup_processor_mode: 1
  - .args:
      - .offset:         0
        .size:           4
        .value_kind:     by_value
      - .offset:         4
        .size:           4
        .value_kind:     by_value
      - .actual_access:  read_only
        .address_space:  global
        .offset:         8
        .size:           8
        .value_kind:     global_buffer
      - .actual_access:  read_only
        .address_space:  global
        .offset:         16
        .size:           8
        .value_kind:     global_buffer
      - .actual_access:  read_only
        .address_space:  global
        .offset:         24
        .size:           8
        .value_kind:     global_buffer
      - .actual_access:  read_only
        .address_space:  global
        .offset:         32
        .size:           8
        .value_kind:     global_buffer
      - .offset:         40
        .size:           4
        .value_kind:     by_value
      - .actual_access:  read_only
        .address_space:  global
        .offset:         48
        .size:           8
        .value_kind:     global_buffer
      - .actual_access:  read_only
        .address_space:  global
        .offset:         56
        .size:           8
        .value_kind:     global_buffer
      - .actual_access:  read_only
        .address_space:  global
        .offset:         64
        .size:           8
        .value_kind:     global_buffer
      - .address_space:  global
        .offset:         72
        .size:           8
        .value_kind:     global_buffer
      - .offset:         80
        .size:           4
        .value_kind:     by_value
      - .actual_access:  read_only
        .address_space:  global
        .offset:         88
        .size:           8
        .value_kind:     global_buffer
      - .actual_access:  read_only
        .address_space:  global
        .offset:         96
        .size:           8
        .value_kind:     global_buffer
      - .actual_access:  read_only
        .address_space:  global
        .offset:         104
        .size:           8
        .value_kind:     global_buffer
      - .address_space:  global
        .offset:         112
        .size:           8
        .value_kind:     global_buffer
      - .offset:         120
        .size:           4
        .value_kind:     by_value
      - .address_space:  global
        .offset:         128
        .size:           8
        .value_kind:     global_buffer
    .group_segment_fixed_size: 0
    .kernarg_segment_align: 8
    .kernarg_segment_size: 136
    .language:       OpenCL C
    .language_version:
      - 2
      - 0
    .max_flat_workgroup_size: 1024
    .name:           _ZN9rocsparseL25kernel_correction_no_normILi1024ELi4EdiiEEvT3_T2_PKS2_S4_PKS1_PKT1_21rocsparse_index_base_S4_S4_S6_PS7_SA_S4_S4_S6_SB_SA_SB_
    .private_segment_fixed_size: 0
    .sgpr_count:     48
    .sgpr_spill_count: 0
    .symbol:         _ZN9rocsparseL25kernel_correction_no_normILi1024ELi4EdiiEEvT3_T2_PKS2_S4_PKS1_PKT1_21rocsparse_index_base_S4_S4_S6_PS7_SA_S4_S4_S6_SB_SA_SB_.kd
    .uniform_work_group_size: 1
    .uses_dynamic_stack: false
    .vgpr_count:     31
    .vgpr_spill_count: 0
    .wavefront_size: 32
    .workgroup_processor_mode: 1
  - .args:
      - .offset:         0
        .size:           4
        .value_kind:     by_value
      - .offset:         4
        .size:           4
        .value_kind:     by_value
      - .actual_access:  read_only
        .address_space:  global
        .offset:         8
        .size:           8
        .value_kind:     global_buffer
      - .actual_access:  read_only
        .address_space:  global
        .offset:         16
        .size:           8
        .value_kind:     global_buffer
      - .actual_access:  read_only
        .address_space:  global
        .offset:         24
        .size:           8
        .value_kind:     global_buffer
      - .actual_access:  read_only
        .address_space:  global
        .offset:         32
        .size:           8
        .value_kind:     global_buffer
      - .offset:         40
        .size:           4
        .value_kind:     by_value
      - .actual_access:  read_only
        .address_space:  global
        .offset:         48
        .size:           8
        .value_kind:     global_buffer
      - .actual_access:  read_only
        .address_space:  global
        .offset:         56
        .size:           8
        .value_kind:     global_buffer
      - .actual_access:  read_only
        .address_space:  global
        .offset:         64
        .size:           8
        .value_kind:     global_buffer
      - .address_space:  global
        .offset:         72
        .size:           8
        .value_kind:     global_buffer
      - .offset:         80
        .size:           4
        .value_kind:     by_value
      - .actual_access:  read_only
        .address_space:  global
        .offset:         88
        .size:           8
        .value_kind:     global_buffer
      - .actual_access:  read_only
        .address_space:  global
        .offset:         96
        .size:           8
        .value_kind:     global_buffer
      - .actual_access:  read_only
        .address_space:  global
        .offset:         104
        .size:           8
        .value_kind:     global_buffer
      - .address_space:  global
        .offset:         112
        .size:           8
        .value_kind:     global_buffer
      - .offset:         120
        .size:           4
        .value_kind:     by_value
      - .address_space:  global
        .offset:         128
        .size:           8
        .value_kind:     global_buffer
    .group_segment_fixed_size: 0
    .kernarg_segment_align: 8
    .kernarg_segment_size: 136
    .language:       OpenCL C
    .language_version:
      - 2
      - 0
    .max_flat_workgroup_size: 1024
    .name:           _ZN9rocsparseL25kernel_correction_no_normILi1024ELi8EdiiEEvT3_T2_PKS2_S4_PKS1_PKT1_21rocsparse_index_base_S4_S4_S6_PS7_SA_S4_S4_S6_SB_SA_SB_
    .private_segment_fixed_size: 0
    .sgpr_count:     48
    .sgpr_spill_count: 0
    .symbol:         _ZN9rocsparseL25kernel_correction_no_normILi1024ELi8EdiiEEvT3_T2_PKS2_S4_PKS1_PKT1_21rocsparse_index_base_S4_S4_S6_PS7_SA_S4_S4_S6_SB_SA_SB_.kd
    .uniform_work_group_size: 1
    .uses_dynamic_stack: false
    .vgpr_count:     31
    .vgpr_spill_count: 0
    .wavefront_size: 32
    .workgroup_processor_mode: 1
  - .args:
      - .offset:         0
        .size:           4
        .value_kind:     by_value
      - .offset:         4
        .size:           4
        .value_kind:     by_value
      - .actual_access:  read_only
        .address_space:  global
        .offset:         8
        .size:           8
        .value_kind:     global_buffer
      - .actual_access:  read_only
        .address_space:  global
        .offset:         16
        .size:           8
        .value_kind:     global_buffer
      - .actual_access:  read_only
        .address_space:  global
        .offset:         24
        .size:           8
        .value_kind:     global_buffer
      - .actual_access:  read_only
        .address_space:  global
        .offset:         32
        .size:           8
        .value_kind:     global_buffer
      - .offset:         40
        .size:           4
        .value_kind:     by_value
      - .actual_access:  read_only
        .address_space:  global
        .offset:         48
        .size:           8
        .value_kind:     global_buffer
      - .actual_access:  read_only
        .address_space:  global
        .offset:         56
        .size:           8
        .value_kind:     global_buffer
      - .actual_access:  read_only
        .address_space:  global
        .offset:         64
        .size:           8
        .value_kind:     global_buffer
      - .address_space:  global
        .offset:         72
        .size:           8
        .value_kind:     global_buffer
      - .offset:         80
        .size:           4
        .value_kind:     by_value
      - .actual_access:  read_only
        .address_space:  global
        .offset:         88
        .size:           8
        .value_kind:     global_buffer
      - .actual_access:  read_only
        .address_space:  global
        .offset:         96
        .size:           8
        .value_kind:     global_buffer
      - .actual_access:  read_only
        .address_space:  global
        .offset:         104
        .size:           8
        .value_kind:     global_buffer
      - .address_space:  global
        .offset:         112
        .size:           8
        .value_kind:     global_buffer
      - .offset:         120
        .size:           4
        .value_kind:     by_value
      - .address_space:  global
        .offset:         128
        .size:           8
        .value_kind:     global_buffer
    .group_segment_fixed_size: 0
    .kernarg_segment_align: 8
    .kernarg_segment_size: 136
    .language:       OpenCL C
    .language_version:
      - 2
      - 0
    .max_flat_workgroup_size: 1024
    .name:           _ZN9rocsparseL25kernel_correction_no_normILi1024ELi16EdiiEEvT3_T2_PKS2_S4_PKS1_PKT1_21rocsparse_index_base_S4_S4_S6_PS7_SA_S4_S4_S6_SB_SA_SB_
    .private_segment_fixed_size: 0
    .sgpr_count:     48
    .sgpr_spill_count: 0
    .symbol:         _ZN9rocsparseL25kernel_correction_no_normILi1024ELi16EdiiEEvT3_T2_PKS2_S4_PKS1_PKT1_21rocsparse_index_base_S4_S4_S6_PS7_SA_S4_S4_S6_SB_SA_SB_.kd
    .uniform_work_group_size: 1
    .uses_dynamic_stack: false
    .vgpr_count:     31
    .vgpr_spill_count: 0
    .wavefront_size: 32
    .workgroup_processor_mode: 1
  - .args:
      - .offset:         0
        .size:           4
        .value_kind:     by_value
      - .offset:         4
        .size:           4
        .value_kind:     by_value
      - .actual_access:  read_only
        .address_space:  global
        .offset:         8
        .size:           8
        .value_kind:     global_buffer
      - .actual_access:  read_only
        .address_space:  global
        .offset:         16
        .size:           8
        .value_kind:     global_buffer
      - .actual_access:  read_only
        .address_space:  global
        .offset:         24
        .size:           8
        .value_kind:     global_buffer
      - .actual_access:  read_only
        .address_space:  global
        .offset:         32
        .size:           8
        .value_kind:     global_buffer
      - .offset:         40
        .size:           4
        .value_kind:     by_value
      - .actual_access:  read_only
        .address_space:  global
        .offset:         48
        .size:           8
        .value_kind:     global_buffer
      - .actual_access:  read_only
        .address_space:  global
        .offset:         56
        .size:           8
        .value_kind:     global_buffer
      - .actual_access:  read_only
        .address_space:  global
        .offset:         64
        .size:           8
        .value_kind:     global_buffer
      - .address_space:  global
        .offset:         72
        .size:           8
        .value_kind:     global_buffer
      - .offset:         80
        .size:           4
        .value_kind:     by_value
      - .actual_access:  read_only
        .address_space:  global
        .offset:         88
        .size:           8
        .value_kind:     global_buffer
      - .actual_access:  read_only
        .address_space:  global
        .offset:         96
        .size:           8
        .value_kind:     global_buffer
      - .actual_access:  read_only
        .address_space:  global
        .offset:         104
        .size:           8
        .value_kind:     global_buffer
      - .address_space:  global
        .offset:         112
        .size:           8
        .value_kind:     global_buffer
      - .offset:         120
        .size:           4
        .value_kind:     by_value
      - .address_space:  global
        .offset:         128
        .size:           8
        .value_kind:     global_buffer
    .group_segment_fixed_size: 0
    .kernarg_segment_align: 8
    .kernarg_segment_size: 136
    .language:       OpenCL C
    .language_version:
      - 2
      - 0
    .max_flat_workgroup_size: 1024
    .name:           _ZN9rocsparseL25kernel_correction_no_normILi1024ELi32EdiiEEvT3_T2_PKS2_S4_PKS1_PKT1_21rocsparse_index_base_S4_S4_S6_PS7_SA_S4_S4_S6_SB_SA_SB_
    .private_segment_fixed_size: 0
    .sgpr_count:     48
    .sgpr_spill_count: 0
    .symbol:         _ZN9rocsparseL25kernel_correction_no_normILi1024ELi32EdiiEEvT3_T2_PKS2_S4_PKS1_PKT1_21rocsparse_index_base_S4_S4_S6_PS7_SA_S4_S4_S6_SB_SA_SB_.kd
    .uniform_work_group_size: 1
    .uses_dynamic_stack: false
    .vgpr_count:     31
    .vgpr_spill_count: 0
    .wavefront_size: 32
    .workgroup_processor_mode: 1
  - .args:
      - .offset:         0
        .size:           4
        .value_kind:     by_value
      - .offset:         4
        .size:           4
        .value_kind:     by_value
      - .actual_access:  read_only
        .address_space:  global
        .offset:         8
        .size:           8
        .value_kind:     global_buffer
      - .actual_access:  read_only
        .address_space:  global
        .offset:         16
        .size:           8
        .value_kind:     global_buffer
      - .actual_access:  read_only
        .address_space:  global
        .offset:         24
        .size:           8
        .value_kind:     global_buffer
      - .actual_access:  read_only
        .address_space:  global
        .offset:         32
        .size:           8
        .value_kind:     global_buffer
      - .offset:         40
        .size:           4
        .value_kind:     by_value
      - .actual_access:  read_only
        .address_space:  global
        .offset:         48
        .size:           8
        .value_kind:     global_buffer
      - .actual_access:  read_only
        .address_space:  global
        .offset:         56
        .size:           8
        .value_kind:     global_buffer
      - .actual_access:  read_only
        .address_space:  global
        .offset:         64
        .size:           8
        .value_kind:     global_buffer
      - .address_space:  global
        .offset:         72
        .size:           8
        .value_kind:     global_buffer
      - .offset:         80
        .size:           4
        .value_kind:     by_value
      - .actual_access:  read_only
        .address_space:  global
        .offset:         88
        .size:           8
        .value_kind:     global_buffer
      - .actual_access:  read_only
        .address_space:  global
        .offset:         96
        .size:           8
        .value_kind:     global_buffer
      - .actual_access:  read_only
        .address_space:  global
        .offset:         104
        .size:           8
        .value_kind:     global_buffer
      - .address_space:  global
        .offset:         112
        .size:           8
        .value_kind:     global_buffer
      - .offset:         120
        .size:           4
        .value_kind:     by_value
      - .address_space:  global
        .offset:         128
        .size:           8
        .value_kind:     global_buffer
    .group_segment_fixed_size: 0
    .kernarg_segment_align: 8
    .kernarg_segment_size: 136
    .language:       OpenCL C
    .language_version:
      - 2
      - 0
    .max_flat_workgroup_size: 1024
    .name:           _ZN9rocsparseL25kernel_correction_no_normILi1024ELi64EdiiEEvT3_T2_PKS2_S4_PKS1_PKT1_21rocsparse_index_base_S4_S4_S6_PS7_SA_S4_S4_S6_SB_SA_SB_
    .private_segment_fixed_size: 0
    .sgpr_count:     48
    .sgpr_spill_count: 0
    .symbol:         _ZN9rocsparseL25kernel_correction_no_normILi1024ELi64EdiiEEvT3_T2_PKS2_S4_PKS1_PKT1_21rocsparse_index_base_S4_S4_S6_PS7_SA_S4_S4_S6_SB_SA_SB_.kd
    .uniform_work_group_size: 1
    .uses_dynamic_stack: false
    .vgpr_count:     31
    .vgpr_spill_count: 0
    .wavefront_size: 32
    .workgroup_processor_mode: 1
  - .args:
      - .offset:         0
        .size:           4
        .value_kind:     by_value
      - .offset:         4
        .size:           4
        .value_kind:     by_value
      - .actual_access:  read_only
        .address_space:  global
        .offset:         8
        .size:           8
        .value_kind:     global_buffer
      - .actual_access:  read_only
        .address_space:  global
        .offset:         16
        .size:           8
        .value_kind:     global_buffer
      - .actual_access:  read_only
        .address_space:  global
        .offset:         24
        .size:           8
        .value_kind:     global_buffer
      - .actual_access:  read_only
        .address_space:  global
        .offset:         32
        .size:           8
        .value_kind:     global_buffer
      - .offset:         40
        .size:           4
        .value_kind:     by_value
      - .actual_access:  read_only
        .address_space:  global
        .offset:         48
        .size:           8
        .value_kind:     global_buffer
      - .actual_access:  read_only
        .address_space:  global
        .offset:         56
        .size:           8
        .value_kind:     global_buffer
      - .actual_access:  read_only
        .address_space:  global
        .offset:         64
        .size:           8
        .value_kind:     global_buffer
      - .address_space:  global
        .offset:         72
        .size:           8
        .value_kind:     global_buffer
      - .offset:         80
        .size:           4
        .value_kind:     by_value
      - .actual_access:  read_only
        .address_space:  global
        .offset:         88
        .size:           8
        .value_kind:     global_buffer
      - .actual_access:  read_only
        .address_space:  global
        .offset:         96
        .size:           8
        .value_kind:     global_buffer
      - .actual_access:  read_only
        .address_space:  global
        .offset:         104
        .size:           8
        .value_kind:     global_buffer
      - .address_space:  global
        .offset:         112
        .size:           8
        .value_kind:     global_buffer
      - .offset:         120
        .size:           4
        .value_kind:     by_value
      - .address_space:  global
        .offset:         128
        .size:           8
        .value_kind:     global_buffer
      - .address_space:  global
        .offset:         136
        .size:           8
        .value_kind:     global_buffer
      - .address_space:  global
        .offset:         144
        .size:           8
        .value_kind:     global_buffer
    .group_segment_fixed_size: 8192
    .kernarg_segment_align: 8
    .kernarg_segment_size: 152
    .language:       OpenCL C
    .language_version:
      - 2
      - 0
    .max_flat_workgroup_size: 1024
    .name:           _ZN9rocsparseL17kernel_correctionILi1024ELi1EdiiEEvT3_T2_PKS2_S4_PKS1_PKT1_21rocsparse_index_base_S4_S4_S6_PS7_SA_S4_S4_S6_SB_SA_SB_PNS_15floating_traitsIS7_E6data_tEPKSE_
    .private_segment_fixed_size: 0
    .sgpr_count:     53
    .sgpr_spill_count: 0
    .symbol:         _ZN9rocsparseL17kernel_correctionILi1024ELi1EdiiEEvT3_T2_PKS2_S4_PKS1_PKT1_21rocsparse_index_base_S4_S4_S6_PS7_SA_S4_S4_S6_SB_SA_SB_PNS_15floating_traitsIS7_E6data_tEPKSE_.kd
    .uniform_work_group_size: 1
    .uses_dynamic_stack: false
    .vgpr_count:     36
    .vgpr_spill_count: 0
    .wavefront_size: 32
    .workgroup_processor_mode: 1
  - .args:
      - .offset:         0
        .size:           4
        .value_kind:     by_value
      - .offset:         4
        .size:           4
        .value_kind:     by_value
      - .actual_access:  read_only
        .address_space:  global
        .offset:         8
        .size:           8
        .value_kind:     global_buffer
      - .actual_access:  read_only
        .address_space:  global
        .offset:         16
        .size:           8
        .value_kind:     global_buffer
      - .actual_access:  read_only
        .address_space:  global
        .offset:         24
        .size:           8
        .value_kind:     global_buffer
      - .actual_access:  read_only
        .address_space:  global
        .offset:         32
        .size:           8
        .value_kind:     global_buffer
      - .offset:         40
        .size:           4
        .value_kind:     by_value
      - .actual_access:  read_only
        .address_space:  global
        .offset:         48
        .size:           8
        .value_kind:     global_buffer
      - .actual_access:  read_only
        .address_space:  global
        .offset:         56
        .size:           8
        .value_kind:     global_buffer
      - .actual_access:  read_only
        .address_space:  global
        .offset:         64
        .size:           8
        .value_kind:     global_buffer
      - .address_space:  global
        .offset:         72
        .size:           8
        .value_kind:     global_buffer
      - .offset:         80
        .size:           4
        .value_kind:     by_value
      - .actual_access:  read_only
        .address_space:  global
        .offset:         88
        .size:           8
        .value_kind:     global_buffer
      - .actual_access:  read_only
        .address_space:  global
        .offset:         96
        .size:           8
        .value_kind:     global_buffer
      - .actual_access:  read_only
        .address_space:  global
        .offset:         104
        .size:           8
        .value_kind:     global_buffer
      - .address_space:  global
        .offset:         112
        .size:           8
        .value_kind:     global_buffer
      - .offset:         120
        .size:           4
        .value_kind:     by_value
      - .address_space:  global
        .offset:         128
        .size:           8
        .value_kind:     global_buffer
      - .address_space:  global
        .offset:         136
        .size:           8
        .value_kind:     global_buffer
      - .address_space:  global
        .offset:         144
        .size:           8
        .value_kind:     global_buffer
    .group_segment_fixed_size: 4096
    .kernarg_segment_align: 8
    .kernarg_segment_size: 152
    .language:       OpenCL C
    .language_version:
      - 2
      - 0
    .max_flat_workgroup_size: 1024
    .name:           _ZN9rocsparseL17kernel_correctionILi1024ELi2EdiiEEvT3_T2_PKS2_S4_PKS1_PKT1_21rocsparse_index_base_S4_S4_S6_PS7_SA_S4_S4_S6_SB_SA_SB_PNS_15floating_traitsIS7_E6data_tEPKSE_
    .private_segment_fixed_size: 0
    .sgpr_count:     53
    .sgpr_spill_count: 0
    .symbol:         _ZN9rocsparseL17kernel_correctionILi1024ELi2EdiiEEvT3_T2_PKS2_S4_PKS1_PKT1_21rocsparse_index_base_S4_S4_S6_PS7_SA_S4_S4_S6_SB_SA_SB_PNS_15floating_traitsIS7_E6data_tEPKSE_.kd
    .uniform_work_group_size: 1
    .uses_dynamic_stack: false
    .vgpr_count:     39
    .vgpr_spill_count: 0
    .wavefront_size: 32
    .workgroup_processor_mode: 1
  - .args:
      - .offset:         0
        .size:           4
        .value_kind:     by_value
      - .offset:         4
        .size:           4
        .value_kind:     by_value
      - .actual_access:  read_only
        .address_space:  global
        .offset:         8
        .size:           8
        .value_kind:     global_buffer
      - .actual_access:  read_only
        .address_space:  global
        .offset:         16
        .size:           8
        .value_kind:     global_buffer
      - .actual_access:  read_only
        .address_space:  global
        .offset:         24
        .size:           8
        .value_kind:     global_buffer
      - .actual_access:  read_only
        .address_space:  global
        .offset:         32
        .size:           8
        .value_kind:     global_buffer
      - .offset:         40
        .size:           4
        .value_kind:     by_value
      - .actual_access:  read_only
        .address_space:  global
        .offset:         48
        .size:           8
        .value_kind:     global_buffer
      - .actual_access:  read_only
        .address_space:  global
        .offset:         56
        .size:           8
        .value_kind:     global_buffer
      - .actual_access:  read_only
        .address_space:  global
        .offset:         64
        .size:           8
        .value_kind:     global_buffer
      - .address_space:  global
        .offset:         72
        .size:           8
        .value_kind:     global_buffer
      - .offset:         80
        .size:           4
        .value_kind:     by_value
      - .actual_access:  read_only
        .address_space:  global
        .offset:         88
        .size:           8
        .value_kind:     global_buffer
      - .actual_access:  read_only
        .address_space:  global
        .offset:         96
        .size:           8
        .value_kind:     global_buffer
      - .actual_access:  read_only
        .address_space:  global
        .offset:         104
        .size:           8
        .value_kind:     global_buffer
      - .address_space:  global
        .offset:         112
        .size:           8
        .value_kind:     global_buffer
      - .offset:         120
        .size:           4
        .value_kind:     by_value
      - .address_space:  global
        .offset:         128
        .size:           8
        .value_kind:     global_buffer
      - .address_space:  global
        .offset:         136
        .size:           8
        .value_kind:     global_buffer
      - .address_space:  global
        .offset:         144
        .size:           8
        .value_kind:     global_buffer
    .group_segment_fixed_size: 2048
    .kernarg_segment_align: 8
    .kernarg_segment_size: 152
    .language:       OpenCL C
    .language_version:
      - 2
      - 0
    .max_flat_workgroup_size: 1024
    .name:           _ZN9rocsparseL17kernel_correctionILi1024ELi4EdiiEEvT3_T2_PKS2_S4_PKS1_PKT1_21rocsparse_index_base_S4_S4_S6_PS7_SA_S4_S4_S6_SB_SA_SB_PNS_15floating_traitsIS7_E6data_tEPKSE_
    .private_segment_fixed_size: 0
    .sgpr_count:     53
    .sgpr_spill_count: 0
    .symbol:         _ZN9rocsparseL17kernel_correctionILi1024ELi4EdiiEEvT3_T2_PKS2_S4_PKS1_PKT1_21rocsparse_index_base_S4_S4_S6_PS7_SA_S4_S4_S6_SB_SA_SB_PNS_15floating_traitsIS7_E6data_tEPKSE_.kd
    .uniform_work_group_size: 1
    .uses_dynamic_stack: false
    .vgpr_count:     39
    .vgpr_spill_count: 0
    .wavefront_size: 32
    .workgroup_processor_mode: 1
  - .args:
      - .offset:         0
        .size:           4
        .value_kind:     by_value
      - .offset:         4
        .size:           4
        .value_kind:     by_value
      - .actual_access:  read_only
        .address_space:  global
        .offset:         8
        .size:           8
        .value_kind:     global_buffer
      - .actual_access:  read_only
        .address_space:  global
        .offset:         16
        .size:           8
        .value_kind:     global_buffer
      - .actual_access:  read_only
        .address_space:  global
        .offset:         24
        .size:           8
        .value_kind:     global_buffer
      - .actual_access:  read_only
        .address_space:  global
        .offset:         32
        .size:           8
        .value_kind:     global_buffer
      - .offset:         40
        .size:           4
        .value_kind:     by_value
      - .actual_access:  read_only
        .address_space:  global
        .offset:         48
        .size:           8
        .value_kind:     global_buffer
      - .actual_access:  read_only
        .address_space:  global
        .offset:         56
        .size:           8
        .value_kind:     global_buffer
      - .actual_access:  read_only
        .address_space:  global
        .offset:         64
        .size:           8
        .value_kind:     global_buffer
      - .address_space:  global
        .offset:         72
        .size:           8
        .value_kind:     global_buffer
      - .offset:         80
        .size:           4
        .value_kind:     by_value
      - .actual_access:  read_only
        .address_space:  global
        .offset:         88
        .size:           8
        .value_kind:     global_buffer
      - .actual_access:  read_only
        .address_space:  global
        .offset:         96
        .size:           8
        .value_kind:     global_buffer
      - .actual_access:  read_only
        .address_space:  global
        .offset:         104
        .size:           8
        .value_kind:     global_buffer
      - .address_space:  global
        .offset:         112
        .size:           8
        .value_kind:     global_buffer
      - .offset:         120
        .size:           4
        .value_kind:     by_value
      - .address_space:  global
        .offset:         128
        .size:           8
        .value_kind:     global_buffer
      - .address_space:  global
        .offset:         136
        .size:           8
        .value_kind:     global_buffer
      - .address_space:  global
        .offset:         144
        .size:           8
        .value_kind:     global_buffer
    .group_segment_fixed_size: 1024
    .kernarg_segment_align: 8
    .kernarg_segment_size: 152
    .language:       OpenCL C
    .language_version:
      - 2
      - 0
    .max_flat_workgroup_size: 1024
    .name:           _ZN9rocsparseL17kernel_correctionILi1024ELi8EdiiEEvT3_T2_PKS2_S4_PKS1_PKT1_21rocsparse_index_base_S4_S4_S6_PS7_SA_S4_S4_S6_SB_SA_SB_PNS_15floating_traitsIS7_E6data_tEPKSE_
    .private_segment_fixed_size: 0
    .sgpr_count:     53
    .sgpr_spill_count: 0
    .symbol:         _ZN9rocsparseL17kernel_correctionILi1024ELi8EdiiEEvT3_T2_PKS2_S4_PKS1_PKT1_21rocsparse_index_base_S4_S4_S6_PS7_SA_S4_S4_S6_SB_SA_SB_PNS_15floating_traitsIS7_E6data_tEPKSE_.kd
    .uniform_work_group_size: 1
    .uses_dynamic_stack: false
    .vgpr_count:     39
    .vgpr_spill_count: 0
    .wavefront_size: 32
    .workgroup_processor_mode: 1
  - .args:
      - .offset:         0
        .size:           4
        .value_kind:     by_value
      - .offset:         4
        .size:           4
        .value_kind:     by_value
      - .actual_access:  read_only
        .address_space:  global
        .offset:         8
        .size:           8
        .value_kind:     global_buffer
      - .actual_access:  read_only
        .address_space:  global
        .offset:         16
        .size:           8
        .value_kind:     global_buffer
      - .actual_access:  read_only
        .address_space:  global
        .offset:         24
        .size:           8
        .value_kind:     global_buffer
      - .actual_access:  read_only
        .address_space:  global
        .offset:         32
        .size:           8
        .value_kind:     global_buffer
      - .offset:         40
        .size:           4
        .value_kind:     by_value
      - .actual_access:  read_only
        .address_space:  global
        .offset:         48
        .size:           8
        .value_kind:     global_buffer
      - .actual_access:  read_only
        .address_space:  global
        .offset:         56
        .size:           8
        .value_kind:     global_buffer
      - .actual_access:  read_only
        .address_space:  global
        .offset:         64
        .size:           8
        .value_kind:     global_buffer
      - .address_space:  global
        .offset:         72
        .size:           8
        .value_kind:     global_buffer
      - .offset:         80
        .size:           4
        .value_kind:     by_value
      - .actual_access:  read_only
        .address_space:  global
        .offset:         88
        .size:           8
        .value_kind:     global_buffer
      - .actual_access:  read_only
        .address_space:  global
        .offset:         96
        .size:           8
        .value_kind:     global_buffer
      - .actual_access:  read_only
        .address_space:  global
        .offset:         104
        .size:           8
        .value_kind:     global_buffer
      - .address_space:  global
        .offset:         112
        .size:           8
        .value_kind:     global_buffer
      - .offset:         120
        .size:           4
        .value_kind:     by_value
      - .address_space:  global
        .offset:         128
        .size:           8
        .value_kind:     global_buffer
      - .address_space:  global
        .offset:         136
        .size:           8
        .value_kind:     global_buffer
      - .address_space:  global
        .offset:         144
        .size:           8
        .value_kind:     global_buffer
    .group_segment_fixed_size: 512
    .kernarg_segment_align: 8
    .kernarg_segment_size: 152
    .language:       OpenCL C
    .language_version:
      - 2
      - 0
    .max_flat_workgroup_size: 1024
    .name:           _ZN9rocsparseL17kernel_correctionILi1024ELi16EdiiEEvT3_T2_PKS2_S4_PKS1_PKT1_21rocsparse_index_base_S4_S4_S6_PS7_SA_S4_S4_S6_SB_SA_SB_PNS_15floating_traitsIS7_E6data_tEPKSE_
    .private_segment_fixed_size: 0
    .sgpr_count:     53
    .sgpr_spill_count: 0
    .symbol:         _ZN9rocsparseL17kernel_correctionILi1024ELi16EdiiEEvT3_T2_PKS2_S4_PKS1_PKT1_21rocsparse_index_base_S4_S4_S6_PS7_SA_S4_S4_S6_SB_SA_SB_PNS_15floating_traitsIS7_E6data_tEPKSE_.kd
    .uniform_work_group_size: 1
    .uses_dynamic_stack: false
    .vgpr_count:     39
    .vgpr_spill_count: 0
    .wavefront_size: 32
    .workgroup_processor_mode: 1
  - .args:
      - .offset:         0
        .size:           4
        .value_kind:     by_value
      - .offset:         4
        .size:           4
        .value_kind:     by_value
      - .actual_access:  read_only
        .address_space:  global
        .offset:         8
        .size:           8
        .value_kind:     global_buffer
      - .actual_access:  read_only
        .address_space:  global
        .offset:         16
        .size:           8
        .value_kind:     global_buffer
      - .actual_access:  read_only
        .address_space:  global
        .offset:         24
        .size:           8
        .value_kind:     global_buffer
      - .actual_access:  read_only
        .address_space:  global
        .offset:         32
        .size:           8
        .value_kind:     global_buffer
      - .offset:         40
        .size:           4
        .value_kind:     by_value
      - .actual_access:  read_only
        .address_space:  global
        .offset:         48
        .size:           8
        .value_kind:     global_buffer
      - .actual_access:  read_only
        .address_space:  global
        .offset:         56
        .size:           8
        .value_kind:     global_buffer
      - .actual_access:  read_only
        .address_space:  global
        .offset:         64
        .size:           8
        .value_kind:     global_buffer
      - .address_space:  global
        .offset:         72
        .size:           8
        .value_kind:     global_buffer
      - .offset:         80
        .size:           4
        .value_kind:     by_value
      - .actual_access:  read_only
        .address_space:  global
        .offset:         88
        .size:           8
        .value_kind:     global_buffer
      - .actual_access:  read_only
        .address_space:  global
        .offset:         96
        .size:           8
        .value_kind:     global_buffer
      - .actual_access:  read_only
        .address_space:  global
        .offset:         104
        .size:           8
        .value_kind:     global_buffer
      - .address_space:  global
        .offset:         112
        .size:           8
        .value_kind:     global_buffer
      - .offset:         120
        .size:           4
        .value_kind:     by_value
      - .address_space:  global
        .offset:         128
        .size:           8
        .value_kind:     global_buffer
      - .address_space:  global
        .offset:         136
        .size:           8
        .value_kind:     global_buffer
      - .address_space:  global
        .offset:         144
        .size:           8
        .value_kind:     global_buffer
    .group_segment_fixed_size: 256
    .kernarg_segment_align: 8
    .kernarg_segment_size: 152
    .language:       OpenCL C
    .language_version:
      - 2
      - 0
    .max_flat_workgroup_size: 1024
    .name:           _ZN9rocsparseL17kernel_correctionILi1024ELi32EdiiEEvT3_T2_PKS2_S4_PKS1_PKT1_21rocsparse_index_base_S4_S4_S6_PS7_SA_S4_S4_S6_SB_SA_SB_PNS_15floating_traitsIS7_E6data_tEPKSE_
    .private_segment_fixed_size: 0
    .sgpr_count:     53
    .sgpr_spill_count: 0
    .symbol:         _ZN9rocsparseL17kernel_correctionILi1024ELi32EdiiEEvT3_T2_PKS2_S4_PKS1_PKT1_21rocsparse_index_base_S4_S4_S6_PS7_SA_S4_S4_S6_SB_SA_SB_PNS_15floating_traitsIS7_E6data_tEPKSE_.kd
    .uniform_work_group_size: 1
    .uses_dynamic_stack: false
    .vgpr_count:     39
    .vgpr_spill_count: 0
    .wavefront_size: 32
    .workgroup_processor_mode: 1
  - .args:
      - .offset:         0
        .size:           4
        .value_kind:     by_value
      - .offset:         4
        .size:           4
        .value_kind:     by_value
      - .actual_access:  read_only
        .address_space:  global
        .offset:         8
        .size:           8
        .value_kind:     global_buffer
      - .actual_access:  read_only
        .address_space:  global
        .offset:         16
        .size:           8
        .value_kind:     global_buffer
      - .actual_access:  read_only
        .address_space:  global
        .offset:         24
        .size:           8
        .value_kind:     global_buffer
      - .actual_access:  read_only
        .address_space:  global
        .offset:         32
        .size:           8
        .value_kind:     global_buffer
      - .offset:         40
        .size:           4
        .value_kind:     by_value
      - .actual_access:  read_only
        .address_space:  global
        .offset:         48
        .size:           8
        .value_kind:     global_buffer
      - .actual_access:  read_only
        .address_space:  global
        .offset:         56
        .size:           8
        .value_kind:     global_buffer
      - .actual_access:  read_only
        .address_space:  global
        .offset:         64
        .size:           8
        .value_kind:     global_buffer
      - .address_space:  global
        .offset:         72
        .size:           8
        .value_kind:     global_buffer
      - .offset:         80
        .size:           4
        .value_kind:     by_value
      - .actual_access:  read_only
        .address_space:  global
        .offset:         88
        .size:           8
        .value_kind:     global_buffer
      - .actual_access:  read_only
        .address_space:  global
        .offset:         96
        .size:           8
        .value_kind:     global_buffer
      - .actual_access:  read_only
        .address_space:  global
        .offset:         104
        .size:           8
        .value_kind:     global_buffer
      - .address_space:  global
        .offset:         112
        .size:           8
        .value_kind:     global_buffer
      - .offset:         120
        .size:           4
        .value_kind:     by_value
      - .address_space:  global
        .offset:         128
        .size:           8
        .value_kind:     global_buffer
      - .address_space:  global
        .offset:         136
        .size:           8
        .value_kind:     global_buffer
      - .address_space:  global
        .offset:         144
        .size:           8
        .value_kind:     global_buffer
    .group_segment_fixed_size: 128
    .kernarg_segment_align: 8
    .kernarg_segment_size: 152
    .language:       OpenCL C
    .language_version:
      - 2
      - 0
    .max_flat_workgroup_size: 1024
    .name:           _ZN9rocsparseL17kernel_correctionILi1024ELi64EdiiEEvT3_T2_PKS2_S4_PKS1_PKT1_21rocsparse_index_base_S4_S4_S6_PS7_SA_S4_S4_S6_SB_SA_SB_PNS_15floating_traitsIS7_E6data_tEPKSE_
    .private_segment_fixed_size: 0
    .sgpr_count:     53
    .sgpr_spill_count: 0
    .symbol:         _ZN9rocsparseL17kernel_correctionILi1024ELi64EdiiEEvT3_T2_PKS2_S4_PKS1_PKT1_21rocsparse_index_base_S4_S4_S6_PS7_SA_S4_S4_S6_SB_SA_SB_PNS_15floating_traitsIS7_E6data_tEPKSE_.kd
    .uniform_work_group_size: 1
    .uses_dynamic_stack: false
    .vgpr_count:     39
    .vgpr_spill_count: 0
    .wavefront_size: 32
    .workgroup_processor_mode: 1
  - .args:
      - .offset:         0
        .size:           4
        .value_kind:     by_value
      - .offset:         4
        .size:           4
        .value_kind:     by_value
      - .actual_access:  read_only
        .address_space:  global
        .offset:         8
        .size:           8
        .value_kind:     global_buffer
      - .actual_access:  read_only
        .address_space:  global
        .offset:         16
        .size:           8
        .value_kind:     global_buffer
      - .actual_access:  read_only
        .address_space:  global
        .offset:         24
        .size:           8
        .value_kind:     global_buffer
      - .actual_access:  read_only
        .address_space:  global
        .offset:         32
        .size:           8
        .value_kind:     global_buffer
      - .offset:         40
        .size:           4
        .value_kind:     by_value
      - .actual_access:  read_only
        .address_space:  global
        .offset:         48
        .size:           8
        .value_kind:     global_buffer
      - .actual_access:  read_only
        .address_space:  global
        .offset:         56
        .size:           8
        .value_kind:     global_buffer
      - .actual_access:  read_only
        .address_space:  global
        .offset:         64
        .size:           8
        .value_kind:     global_buffer
      - .address_space:  global
        .offset:         72
        .size:           8
        .value_kind:     global_buffer
      - .offset:         80
        .size:           4
        .value_kind:     by_value
      - .actual_access:  read_only
        .address_space:  global
        .offset:         88
        .size:           8
        .value_kind:     global_buffer
      - .actual_access:  read_only
        .address_space:  global
        .offset:         96
        .size:           8
        .value_kind:     global_buffer
      - .actual_access:  read_only
        .address_space:  global
        .offset:         104
        .size:           8
        .value_kind:     global_buffer
      - .address_space:  global
        .offset:         112
        .size:           8
        .value_kind:     global_buffer
      - .offset:         120
        .size:           4
        .value_kind:     by_value
      - .address_space:  global
        .offset:         128
        .size:           8
        .value_kind:     global_buffer
    .group_segment_fixed_size: 0
    .kernarg_segment_align: 8
    .kernarg_segment_size: 136
    .language:       OpenCL C
    .language_version:
      - 2
      - 0
    .max_flat_workgroup_size: 1024
    .name:           _ZN9rocsparseL25kernel_correction_no_normILi1024ELi1E21rocsparse_complex_numIfEiiEEvT3_T2_PKS4_S6_PKS3_PKT1_21rocsparse_index_base_S6_S6_S8_PS9_SC_S6_S6_S8_SD_SC_SD_
    .private_segment_fixed_size: 0
    .sgpr_count:     49
    .sgpr_spill_count: 0
    .symbol:         _ZN9rocsparseL25kernel_correction_no_normILi1024ELi1E21rocsparse_complex_numIfEiiEEvT3_T2_PKS4_S6_PKS3_PKT1_21rocsparse_index_base_S6_S6_S8_PS9_SC_S6_S6_S8_SD_SC_SD_.kd
    .uniform_work_group_size: 1
    .uses_dynamic_stack: false
    .vgpr_count:     30
    .vgpr_spill_count: 0
    .wavefront_size: 32
    .workgroup_processor_mode: 1
  - .args:
      - .offset:         0
        .size:           4
        .value_kind:     by_value
      - .offset:         4
        .size:           4
        .value_kind:     by_value
      - .actual_access:  read_only
        .address_space:  global
        .offset:         8
        .size:           8
        .value_kind:     global_buffer
      - .actual_access:  read_only
        .address_space:  global
        .offset:         16
        .size:           8
        .value_kind:     global_buffer
      - .actual_access:  read_only
        .address_space:  global
        .offset:         24
        .size:           8
        .value_kind:     global_buffer
      - .actual_access:  read_only
        .address_space:  global
        .offset:         32
        .size:           8
        .value_kind:     global_buffer
      - .offset:         40
        .size:           4
        .value_kind:     by_value
      - .actual_access:  read_only
        .address_space:  global
        .offset:         48
        .size:           8
        .value_kind:     global_buffer
      - .actual_access:  read_only
        .address_space:  global
        .offset:         56
        .size:           8
        .value_kind:     global_buffer
      - .actual_access:  read_only
        .address_space:  global
        .offset:         64
        .size:           8
        .value_kind:     global_buffer
      - .address_space:  global
        .offset:         72
        .size:           8
        .value_kind:     global_buffer
      - .offset:         80
        .size:           4
        .value_kind:     by_value
      - .actual_access:  read_only
        .address_space:  global
        .offset:         88
        .size:           8
        .value_kind:     global_buffer
      - .actual_access:  read_only
        .address_space:  global
        .offset:         96
        .size:           8
        .value_kind:     global_buffer
      - .actual_access:  read_only
        .address_space:  global
        .offset:         104
        .size:           8
        .value_kind:     global_buffer
      - .address_space:  global
        .offset:         112
        .size:           8
        .value_kind:     global_buffer
      - .offset:         120
        .size:           4
        .value_kind:     by_value
      - .address_space:  global
        .offset:         128
        .size:           8
        .value_kind:     global_buffer
    .group_segment_fixed_size: 0
    .kernarg_segment_align: 8
    .kernarg_segment_size: 136
    .language:       OpenCL C
    .language_version:
      - 2
      - 0
    .max_flat_workgroup_size: 1024
    .name:           _ZN9rocsparseL25kernel_correction_no_normILi1024ELi2E21rocsparse_complex_numIfEiiEEvT3_T2_PKS4_S6_PKS3_PKT1_21rocsparse_index_base_S6_S6_S8_PS9_SC_S6_S6_S8_SD_SC_SD_
    .private_segment_fixed_size: 0
    .sgpr_count:     49
    .sgpr_spill_count: 0
    .symbol:         _ZN9rocsparseL25kernel_correction_no_normILi1024ELi2E21rocsparse_complex_numIfEiiEEvT3_T2_PKS4_S6_PKS3_PKT1_21rocsparse_index_base_S6_S6_S8_PS9_SC_S6_S6_S8_SD_SC_SD_.kd
    .uniform_work_group_size: 1
    .uses_dynamic_stack: false
    .vgpr_count:     31
    .vgpr_spill_count: 0
    .wavefront_size: 32
    .workgroup_processor_mode: 1
  - .args:
      - .offset:         0
        .size:           4
        .value_kind:     by_value
      - .offset:         4
        .size:           4
        .value_kind:     by_value
      - .actual_access:  read_only
        .address_space:  global
        .offset:         8
        .size:           8
        .value_kind:     global_buffer
      - .actual_access:  read_only
        .address_space:  global
        .offset:         16
        .size:           8
        .value_kind:     global_buffer
      - .actual_access:  read_only
        .address_space:  global
        .offset:         24
        .size:           8
        .value_kind:     global_buffer
      - .actual_access:  read_only
        .address_space:  global
        .offset:         32
        .size:           8
        .value_kind:     global_buffer
      - .offset:         40
        .size:           4
        .value_kind:     by_value
      - .actual_access:  read_only
        .address_space:  global
        .offset:         48
        .size:           8
        .value_kind:     global_buffer
      - .actual_access:  read_only
        .address_space:  global
        .offset:         56
        .size:           8
        .value_kind:     global_buffer
      - .actual_access:  read_only
        .address_space:  global
        .offset:         64
        .size:           8
        .value_kind:     global_buffer
      - .address_space:  global
        .offset:         72
        .size:           8
        .value_kind:     global_buffer
      - .offset:         80
        .size:           4
        .value_kind:     by_value
      - .actual_access:  read_only
        .address_space:  global
        .offset:         88
        .size:           8
        .value_kind:     global_buffer
      - .actual_access:  read_only
        .address_space:  global
        .offset:         96
        .size:           8
        .value_kind:     global_buffer
      - .actual_access:  read_only
        .address_space:  global
        .offset:         104
        .size:           8
        .value_kind:     global_buffer
      - .address_space:  global
        .offset:         112
        .size:           8
        .value_kind:     global_buffer
      - .offset:         120
        .size:           4
        .value_kind:     by_value
      - .address_space:  global
        .offset:         128
        .size:           8
        .value_kind:     global_buffer
    .group_segment_fixed_size: 0
    .kernarg_segment_align: 8
    .kernarg_segment_size: 136
    .language:       OpenCL C
    .language_version:
      - 2
      - 0
    .max_flat_workgroup_size: 1024
    .name:           _ZN9rocsparseL25kernel_correction_no_normILi1024ELi4E21rocsparse_complex_numIfEiiEEvT3_T2_PKS4_S6_PKS3_PKT1_21rocsparse_index_base_S6_S6_S8_PS9_SC_S6_S6_S8_SD_SC_SD_
    .private_segment_fixed_size: 0
    .sgpr_count:     49
    .sgpr_spill_count: 0
    .symbol:         _ZN9rocsparseL25kernel_correction_no_normILi1024ELi4E21rocsparse_complex_numIfEiiEEvT3_T2_PKS4_S6_PKS3_PKT1_21rocsparse_index_base_S6_S6_S8_PS9_SC_S6_S6_S8_SD_SC_SD_.kd
    .uniform_work_group_size: 1
    .uses_dynamic_stack: false
    .vgpr_count:     31
    .vgpr_spill_count: 0
    .wavefront_size: 32
    .workgroup_processor_mode: 1
  - .args:
      - .offset:         0
        .size:           4
        .value_kind:     by_value
      - .offset:         4
        .size:           4
        .value_kind:     by_value
      - .actual_access:  read_only
        .address_space:  global
        .offset:         8
        .size:           8
        .value_kind:     global_buffer
      - .actual_access:  read_only
        .address_space:  global
        .offset:         16
        .size:           8
        .value_kind:     global_buffer
      - .actual_access:  read_only
        .address_space:  global
        .offset:         24
        .size:           8
        .value_kind:     global_buffer
      - .actual_access:  read_only
        .address_space:  global
        .offset:         32
        .size:           8
        .value_kind:     global_buffer
      - .offset:         40
        .size:           4
        .value_kind:     by_value
      - .actual_access:  read_only
        .address_space:  global
        .offset:         48
        .size:           8
        .value_kind:     global_buffer
      - .actual_access:  read_only
        .address_space:  global
        .offset:         56
        .size:           8
        .value_kind:     global_buffer
      - .actual_access:  read_only
        .address_space:  global
        .offset:         64
        .size:           8
        .value_kind:     global_buffer
      - .address_space:  global
        .offset:         72
        .size:           8
        .value_kind:     global_buffer
      - .offset:         80
        .size:           4
        .value_kind:     by_value
      - .actual_access:  read_only
        .address_space:  global
        .offset:         88
        .size:           8
        .value_kind:     global_buffer
      - .actual_access:  read_only
        .address_space:  global
        .offset:         96
        .size:           8
        .value_kind:     global_buffer
      - .actual_access:  read_only
        .address_space:  global
        .offset:         104
        .size:           8
        .value_kind:     global_buffer
      - .address_space:  global
        .offset:         112
        .size:           8
        .value_kind:     global_buffer
      - .offset:         120
        .size:           4
        .value_kind:     by_value
      - .address_space:  global
        .offset:         128
        .size:           8
        .value_kind:     global_buffer
    .group_segment_fixed_size: 0
    .kernarg_segment_align: 8
    .kernarg_segment_size: 136
    .language:       OpenCL C
    .language_version:
      - 2
      - 0
    .max_flat_workgroup_size: 1024
    .name:           _ZN9rocsparseL25kernel_correction_no_normILi1024ELi8E21rocsparse_complex_numIfEiiEEvT3_T2_PKS4_S6_PKS3_PKT1_21rocsparse_index_base_S6_S6_S8_PS9_SC_S6_S6_S8_SD_SC_SD_
    .private_segment_fixed_size: 0
    .sgpr_count:     49
    .sgpr_spill_count: 0
    .symbol:         _ZN9rocsparseL25kernel_correction_no_normILi1024ELi8E21rocsparse_complex_numIfEiiEEvT3_T2_PKS4_S6_PKS3_PKT1_21rocsparse_index_base_S6_S6_S8_PS9_SC_S6_S6_S8_SD_SC_SD_.kd
    .uniform_work_group_size: 1
    .uses_dynamic_stack: false
    .vgpr_count:     31
    .vgpr_spill_count: 0
    .wavefront_size: 32
    .workgroup_processor_mode: 1
  - .args:
      - .offset:         0
        .size:           4
        .value_kind:     by_value
      - .offset:         4
        .size:           4
        .value_kind:     by_value
      - .actual_access:  read_only
        .address_space:  global
        .offset:         8
        .size:           8
        .value_kind:     global_buffer
      - .actual_access:  read_only
        .address_space:  global
        .offset:         16
        .size:           8
        .value_kind:     global_buffer
      - .actual_access:  read_only
        .address_space:  global
        .offset:         24
        .size:           8
        .value_kind:     global_buffer
      - .actual_access:  read_only
        .address_space:  global
        .offset:         32
        .size:           8
        .value_kind:     global_buffer
      - .offset:         40
        .size:           4
        .value_kind:     by_value
      - .actual_access:  read_only
        .address_space:  global
        .offset:         48
        .size:           8
        .value_kind:     global_buffer
      - .actual_access:  read_only
        .address_space:  global
        .offset:         56
        .size:           8
        .value_kind:     global_buffer
      - .actual_access:  read_only
        .address_space:  global
        .offset:         64
        .size:           8
        .value_kind:     global_buffer
      - .address_space:  global
        .offset:         72
        .size:           8
        .value_kind:     global_buffer
      - .offset:         80
        .size:           4
        .value_kind:     by_value
      - .actual_access:  read_only
        .address_space:  global
        .offset:         88
        .size:           8
        .value_kind:     global_buffer
      - .actual_access:  read_only
        .address_space:  global
        .offset:         96
        .size:           8
        .value_kind:     global_buffer
      - .actual_access:  read_only
        .address_space:  global
        .offset:         104
        .size:           8
        .value_kind:     global_buffer
      - .address_space:  global
        .offset:         112
        .size:           8
        .value_kind:     global_buffer
      - .offset:         120
        .size:           4
        .value_kind:     by_value
      - .address_space:  global
        .offset:         128
        .size:           8
        .value_kind:     global_buffer
    .group_segment_fixed_size: 0
    .kernarg_segment_align: 8
    .kernarg_segment_size: 136
    .language:       OpenCL C
    .language_version:
      - 2
      - 0
    .max_flat_workgroup_size: 1024
    .name:           _ZN9rocsparseL25kernel_correction_no_normILi1024ELi16E21rocsparse_complex_numIfEiiEEvT3_T2_PKS4_S6_PKS3_PKT1_21rocsparse_index_base_S6_S6_S8_PS9_SC_S6_S6_S8_SD_SC_SD_
    .private_segment_fixed_size: 0
    .sgpr_count:     49
    .sgpr_spill_count: 0
    .symbol:         _ZN9rocsparseL25kernel_correction_no_normILi1024ELi16E21rocsparse_complex_numIfEiiEEvT3_T2_PKS4_S6_PKS3_PKT1_21rocsparse_index_base_S6_S6_S8_PS9_SC_S6_S6_S8_SD_SC_SD_.kd
    .uniform_work_group_size: 1
    .uses_dynamic_stack: false
    .vgpr_count:     31
    .vgpr_spill_count: 0
    .wavefront_size: 32
    .workgroup_processor_mode: 1
  - .args:
      - .offset:         0
        .size:           4
        .value_kind:     by_value
      - .offset:         4
        .size:           4
        .value_kind:     by_value
      - .actual_access:  read_only
        .address_space:  global
        .offset:         8
        .size:           8
        .value_kind:     global_buffer
      - .actual_access:  read_only
        .address_space:  global
        .offset:         16
        .size:           8
        .value_kind:     global_buffer
      - .actual_access:  read_only
        .address_space:  global
        .offset:         24
        .size:           8
        .value_kind:     global_buffer
      - .actual_access:  read_only
        .address_space:  global
        .offset:         32
        .size:           8
        .value_kind:     global_buffer
      - .offset:         40
        .size:           4
        .value_kind:     by_value
      - .actual_access:  read_only
        .address_space:  global
        .offset:         48
        .size:           8
        .value_kind:     global_buffer
      - .actual_access:  read_only
        .address_space:  global
        .offset:         56
        .size:           8
        .value_kind:     global_buffer
      - .actual_access:  read_only
        .address_space:  global
        .offset:         64
        .size:           8
        .value_kind:     global_buffer
      - .address_space:  global
        .offset:         72
        .size:           8
        .value_kind:     global_buffer
      - .offset:         80
        .size:           4
        .value_kind:     by_value
      - .actual_access:  read_only
        .address_space:  global
        .offset:         88
        .size:           8
        .value_kind:     global_buffer
      - .actual_access:  read_only
        .address_space:  global
        .offset:         96
        .size:           8
        .value_kind:     global_buffer
      - .actual_access:  read_only
        .address_space:  global
        .offset:         104
        .size:           8
        .value_kind:     global_buffer
      - .address_space:  global
        .offset:         112
        .size:           8
        .value_kind:     global_buffer
      - .offset:         120
        .size:           4
        .value_kind:     by_value
      - .address_space:  global
        .offset:         128
        .size:           8
        .value_kind:     global_buffer
    .group_segment_fixed_size: 0
    .kernarg_segment_align: 8
    .kernarg_segment_size: 136
    .language:       OpenCL C
    .language_version:
      - 2
      - 0
    .max_flat_workgroup_size: 1024
    .name:           _ZN9rocsparseL25kernel_correction_no_normILi1024ELi32E21rocsparse_complex_numIfEiiEEvT3_T2_PKS4_S6_PKS3_PKT1_21rocsparse_index_base_S6_S6_S8_PS9_SC_S6_S6_S8_SD_SC_SD_
    .private_segment_fixed_size: 0
    .sgpr_count:     49
    .sgpr_spill_count: 0
    .symbol:         _ZN9rocsparseL25kernel_correction_no_normILi1024ELi32E21rocsparse_complex_numIfEiiEEvT3_T2_PKS4_S6_PKS3_PKT1_21rocsparse_index_base_S6_S6_S8_PS9_SC_S6_S6_S8_SD_SC_SD_.kd
    .uniform_work_group_size: 1
    .uses_dynamic_stack: false
    .vgpr_count:     31
    .vgpr_spill_count: 0
    .wavefront_size: 32
    .workgroup_processor_mode: 1
  - .args:
      - .offset:         0
        .size:           4
        .value_kind:     by_value
      - .offset:         4
        .size:           4
        .value_kind:     by_value
      - .actual_access:  read_only
        .address_space:  global
        .offset:         8
        .size:           8
        .value_kind:     global_buffer
      - .actual_access:  read_only
        .address_space:  global
        .offset:         16
        .size:           8
        .value_kind:     global_buffer
      - .actual_access:  read_only
        .address_space:  global
        .offset:         24
        .size:           8
        .value_kind:     global_buffer
      - .actual_access:  read_only
        .address_space:  global
        .offset:         32
        .size:           8
        .value_kind:     global_buffer
      - .offset:         40
        .size:           4
        .value_kind:     by_value
      - .actual_access:  read_only
        .address_space:  global
        .offset:         48
        .size:           8
        .value_kind:     global_buffer
      - .actual_access:  read_only
        .address_space:  global
        .offset:         56
        .size:           8
        .value_kind:     global_buffer
      - .actual_access:  read_only
        .address_space:  global
        .offset:         64
        .size:           8
        .value_kind:     global_buffer
      - .address_space:  global
        .offset:         72
        .size:           8
        .value_kind:     global_buffer
      - .offset:         80
        .size:           4
        .value_kind:     by_value
      - .actual_access:  read_only
        .address_space:  global
        .offset:         88
        .size:           8
        .value_kind:     global_buffer
      - .actual_access:  read_only
        .address_space:  global
        .offset:         96
        .size:           8
        .value_kind:     global_buffer
      - .actual_access:  read_only
        .address_space:  global
        .offset:         104
        .size:           8
        .value_kind:     global_buffer
      - .address_space:  global
        .offset:         112
        .size:           8
        .value_kind:     global_buffer
      - .offset:         120
        .size:           4
        .value_kind:     by_value
      - .address_space:  global
        .offset:         128
        .size:           8
        .value_kind:     global_buffer
    .group_segment_fixed_size: 0
    .kernarg_segment_align: 8
    .kernarg_segment_size: 136
    .language:       OpenCL C
    .language_version:
      - 2
      - 0
    .max_flat_workgroup_size: 1024
    .name:           _ZN9rocsparseL25kernel_correction_no_normILi1024ELi64E21rocsparse_complex_numIfEiiEEvT3_T2_PKS4_S6_PKS3_PKT1_21rocsparse_index_base_S6_S6_S8_PS9_SC_S6_S6_S8_SD_SC_SD_
    .private_segment_fixed_size: 0
    .sgpr_count:     49
    .sgpr_spill_count: 0
    .symbol:         _ZN9rocsparseL25kernel_correction_no_normILi1024ELi64E21rocsparse_complex_numIfEiiEEvT3_T2_PKS4_S6_PKS3_PKT1_21rocsparse_index_base_S6_S6_S8_PS9_SC_S6_S6_S8_SD_SC_SD_.kd
    .uniform_work_group_size: 1
    .uses_dynamic_stack: false
    .vgpr_count:     31
    .vgpr_spill_count: 0
    .wavefront_size: 32
    .workgroup_processor_mode: 1
  - .args:
      - .offset:         0
        .size:           4
        .value_kind:     by_value
      - .offset:         4
        .size:           4
        .value_kind:     by_value
      - .actual_access:  read_only
        .address_space:  global
        .offset:         8
        .size:           8
        .value_kind:     global_buffer
      - .actual_access:  read_only
        .address_space:  global
        .offset:         16
        .size:           8
        .value_kind:     global_buffer
      - .actual_access:  read_only
        .address_space:  global
        .offset:         24
        .size:           8
        .value_kind:     global_buffer
      - .actual_access:  read_only
        .address_space:  global
        .offset:         32
        .size:           8
        .value_kind:     global_buffer
      - .offset:         40
        .size:           4
        .value_kind:     by_value
      - .actual_access:  read_only
        .address_space:  global
        .offset:         48
        .size:           8
        .value_kind:     global_buffer
      - .actual_access:  read_only
        .address_space:  global
        .offset:         56
        .size:           8
        .value_kind:     global_buffer
      - .actual_access:  read_only
        .address_space:  global
        .offset:         64
        .size:           8
        .value_kind:     global_buffer
      - .address_space:  global
        .offset:         72
        .size:           8
        .value_kind:     global_buffer
      - .offset:         80
        .size:           4
        .value_kind:     by_value
      - .actual_access:  read_only
        .address_space:  global
        .offset:         88
        .size:           8
        .value_kind:     global_buffer
      - .actual_access:  read_only
        .address_space:  global
        .offset:         96
        .size:           8
        .value_kind:     global_buffer
      - .actual_access:  read_only
        .address_space:  global
        .offset:         104
        .size:           8
        .value_kind:     global_buffer
      - .address_space:  global
        .offset:         112
        .size:           8
        .value_kind:     global_buffer
      - .offset:         120
        .size:           4
        .value_kind:     by_value
      - .address_space:  global
        .offset:         128
        .size:           8
        .value_kind:     global_buffer
      - .address_space:  global
        .offset:         136
        .size:           8
        .value_kind:     global_buffer
      - .address_space:  global
        .offset:         144
        .size:           8
        .value_kind:     global_buffer
    .group_segment_fixed_size: 4096
    .kernarg_segment_align: 8
    .kernarg_segment_size: 152
    .language:       OpenCL C
    .language_version:
      - 2
      - 0
    .max_flat_workgroup_size: 1024
    .name:           _ZN9rocsparseL17kernel_correctionILi1024ELi1E21rocsparse_complex_numIfEiiEEvT3_T2_PKS4_S6_PKS3_PKT1_21rocsparse_index_base_S6_S6_S8_PS9_SC_S6_S6_S8_SD_SC_SD_PNS_15floating_traitsIS9_E6data_tEPKSG_
    .private_segment_fixed_size: 0
    .sgpr_count:     54
    .sgpr_spill_count: 0
    .symbol:         _ZN9rocsparseL17kernel_correctionILi1024ELi1E21rocsparse_complex_numIfEiiEEvT3_T2_PKS4_S6_PKS3_PKT1_21rocsparse_index_base_S6_S6_S8_PS9_SC_S6_S6_S8_SD_SC_SD_PNS_15floating_traitsIS9_E6data_tEPKSG_.kd
    .uniform_work_group_size: 1
    .uses_dynamic_stack: false
    .vgpr_count:     32
    .vgpr_spill_count: 0
    .wavefront_size: 32
    .workgroup_processor_mode: 1
  - .args:
      - .offset:         0
        .size:           4
        .value_kind:     by_value
      - .offset:         4
        .size:           4
        .value_kind:     by_value
      - .actual_access:  read_only
        .address_space:  global
        .offset:         8
        .size:           8
        .value_kind:     global_buffer
      - .actual_access:  read_only
        .address_space:  global
        .offset:         16
        .size:           8
        .value_kind:     global_buffer
      - .actual_access:  read_only
        .address_space:  global
        .offset:         24
        .size:           8
        .value_kind:     global_buffer
      - .actual_access:  read_only
        .address_space:  global
        .offset:         32
        .size:           8
        .value_kind:     global_buffer
      - .offset:         40
        .size:           4
        .value_kind:     by_value
      - .actual_access:  read_only
        .address_space:  global
        .offset:         48
        .size:           8
        .value_kind:     global_buffer
      - .actual_access:  read_only
        .address_space:  global
        .offset:         56
        .size:           8
        .value_kind:     global_buffer
      - .actual_access:  read_only
        .address_space:  global
        .offset:         64
        .size:           8
        .value_kind:     global_buffer
      - .address_space:  global
        .offset:         72
        .size:           8
        .value_kind:     global_buffer
      - .offset:         80
        .size:           4
        .value_kind:     by_value
      - .actual_access:  read_only
        .address_space:  global
        .offset:         88
        .size:           8
        .value_kind:     global_buffer
      - .actual_access:  read_only
        .address_space:  global
        .offset:         96
        .size:           8
        .value_kind:     global_buffer
      - .actual_access:  read_only
        .address_space:  global
        .offset:         104
        .size:           8
        .value_kind:     global_buffer
      - .address_space:  global
        .offset:         112
        .size:           8
        .value_kind:     global_buffer
      - .offset:         120
        .size:           4
        .value_kind:     by_value
      - .address_space:  global
        .offset:         128
        .size:           8
        .value_kind:     global_buffer
      - .address_space:  global
        .offset:         136
        .size:           8
        .value_kind:     global_buffer
      - .address_space:  global
        .offset:         144
        .size:           8
        .value_kind:     global_buffer
    .group_segment_fixed_size: 2048
    .kernarg_segment_align: 8
    .kernarg_segment_size: 152
    .language:       OpenCL C
    .language_version:
      - 2
      - 0
    .max_flat_workgroup_size: 1024
    .name:           _ZN9rocsparseL17kernel_correctionILi1024ELi2E21rocsparse_complex_numIfEiiEEvT3_T2_PKS4_S6_PKS3_PKT1_21rocsparse_index_base_S6_S6_S8_PS9_SC_S6_S6_S8_SD_SC_SD_PNS_15floating_traitsIS9_E6data_tEPKSG_
    .private_segment_fixed_size: 0
    .sgpr_count:     54
    .sgpr_spill_count: 0
    .symbol:         _ZN9rocsparseL17kernel_correctionILi1024ELi2E21rocsparse_complex_numIfEiiEEvT3_T2_PKS4_S6_PKS3_PKT1_21rocsparse_index_base_S6_S6_S8_PS9_SC_S6_S6_S8_SD_SC_SD_PNS_15floating_traitsIS9_E6data_tEPKSG_.kd
    .uniform_work_group_size: 1
    .uses_dynamic_stack: false
    .vgpr_count:     35
    .vgpr_spill_count: 0
    .wavefront_size: 32
    .workgroup_processor_mode: 1
  - .args:
      - .offset:         0
        .size:           4
        .value_kind:     by_value
      - .offset:         4
        .size:           4
        .value_kind:     by_value
      - .actual_access:  read_only
        .address_space:  global
        .offset:         8
        .size:           8
        .value_kind:     global_buffer
      - .actual_access:  read_only
        .address_space:  global
        .offset:         16
        .size:           8
        .value_kind:     global_buffer
      - .actual_access:  read_only
        .address_space:  global
        .offset:         24
        .size:           8
        .value_kind:     global_buffer
      - .actual_access:  read_only
        .address_space:  global
        .offset:         32
        .size:           8
        .value_kind:     global_buffer
      - .offset:         40
        .size:           4
        .value_kind:     by_value
      - .actual_access:  read_only
        .address_space:  global
        .offset:         48
        .size:           8
        .value_kind:     global_buffer
      - .actual_access:  read_only
        .address_space:  global
        .offset:         56
        .size:           8
        .value_kind:     global_buffer
      - .actual_access:  read_only
        .address_space:  global
        .offset:         64
        .size:           8
        .value_kind:     global_buffer
      - .address_space:  global
        .offset:         72
        .size:           8
        .value_kind:     global_buffer
      - .offset:         80
        .size:           4
        .value_kind:     by_value
      - .actual_access:  read_only
        .address_space:  global
        .offset:         88
        .size:           8
        .value_kind:     global_buffer
      - .actual_access:  read_only
        .address_space:  global
        .offset:         96
        .size:           8
        .value_kind:     global_buffer
      - .actual_access:  read_only
        .address_space:  global
        .offset:         104
        .size:           8
        .value_kind:     global_buffer
      - .address_space:  global
        .offset:         112
        .size:           8
        .value_kind:     global_buffer
      - .offset:         120
        .size:           4
        .value_kind:     by_value
      - .address_space:  global
        .offset:         128
        .size:           8
        .value_kind:     global_buffer
      - .address_space:  global
        .offset:         136
        .size:           8
        .value_kind:     global_buffer
      - .address_space:  global
        .offset:         144
        .size:           8
        .value_kind:     global_buffer
    .group_segment_fixed_size: 1024
    .kernarg_segment_align: 8
    .kernarg_segment_size: 152
    .language:       OpenCL C
    .language_version:
      - 2
      - 0
    .max_flat_workgroup_size: 1024
    .name:           _ZN9rocsparseL17kernel_correctionILi1024ELi4E21rocsparse_complex_numIfEiiEEvT3_T2_PKS4_S6_PKS3_PKT1_21rocsparse_index_base_S6_S6_S8_PS9_SC_S6_S6_S8_SD_SC_SD_PNS_15floating_traitsIS9_E6data_tEPKSG_
    .private_segment_fixed_size: 0
    .sgpr_count:     54
    .sgpr_spill_count: 0
    .symbol:         _ZN9rocsparseL17kernel_correctionILi1024ELi4E21rocsparse_complex_numIfEiiEEvT3_T2_PKS4_S6_PKS3_PKT1_21rocsparse_index_base_S6_S6_S8_PS9_SC_S6_S6_S8_SD_SC_SD_PNS_15floating_traitsIS9_E6data_tEPKSG_.kd
    .uniform_work_group_size: 1
    .uses_dynamic_stack: false
    .vgpr_count:     35
    .vgpr_spill_count: 0
    .wavefront_size: 32
    .workgroup_processor_mode: 1
  - .args:
      - .offset:         0
        .size:           4
        .value_kind:     by_value
      - .offset:         4
        .size:           4
        .value_kind:     by_value
      - .actual_access:  read_only
        .address_space:  global
        .offset:         8
        .size:           8
        .value_kind:     global_buffer
      - .actual_access:  read_only
        .address_space:  global
        .offset:         16
        .size:           8
        .value_kind:     global_buffer
      - .actual_access:  read_only
        .address_space:  global
        .offset:         24
        .size:           8
        .value_kind:     global_buffer
      - .actual_access:  read_only
        .address_space:  global
        .offset:         32
        .size:           8
        .value_kind:     global_buffer
      - .offset:         40
        .size:           4
        .value_kind:     by_value
      - .actual_access:  read_only
        .address_space:  global
        .offset:         48
        .size:           8
        .value_kind:     global_buffer
      - .actual_access:  read_only
        .address_space:  global
        .offset:         56
        .size:           8
        .value_kind:     global_buffer
      - .actual_access:  read_only
        .address_space:  global
        .offset:         64
        .size:           8
        .value_kind:     global_buffer
      - .address_space:  global
        .offset:         72
        .size:           8
        .value_kind:     global_buffer
      - .offset:         80
        .size:           4
        .value_kind:     by_value
      - .actual_access:  read_only
        .address_space:  global
        .offset:         88
        .size:           8
        .value_kind:     global_buffer
      - .actual_access:  read_only
        .address_space:  global
        .offset:         96
        .size:           8
        .value_kind:     global_buffer
      - .actual_access:  read_only
        .address_space:  global
        .offset:         104
        .size:           8
        .value_kind:     global_buffer
      - .address_space:  global
        .offset:         112
        .size:           8
        .value_kind:     global_buffer
      - .offset:         120
        .size:           4
        .value_kind:     by_value
      - .address_space:  global
        .offset:         128
        .size:           8
        .value_kind:     global_buffer
      - .address_space:  global
        .offset:         136
        .size:           8
        .value_kind:     global_buffer
      - .address_space:  global
        .offset:         144
        .size:           8
        .value_kind:     global_buffer
    .group_segment_fixed_size: 512
    .kernarg_segment_align: 8
    .kernarg_segment_size: 152
    .language:       OpenCL C
    .language_version:
      - 2
      - 0
    .max_flat_workgroup_size: 1024
    .name:           _ZN9rocsparseL17kernel_correctionILi1024ELi8E21rocsparse_complex_numIfEiiEEvT3_T2_PKS4_S6_PKS3_PKT1_21rocsparse_index_base_S6_S6_S8_PS9_SC_S6_S6_S8_SD_SC_SD_PNS_15floating_traitsIS9_E6data_tEPKSG_
    .private_segment_fixed_size: 0
    .sgpr_count:     54
    .sgpr_spill_count: 0
    .symbol:         _ZN9rocsparseL17kernel_correctionILi1024ELi8E21rocsparse_complex_numIfEiiEEvT3_T2_PKS4_S6_PKS3_PKT1_21rocsparse_index_base_S6_S6_S8_PS9_SC_S6_S6_S8_SD_SC_SD_PNS_15floating_traitsIS9_E6data_tEPKSG_.kd
    .uniform_work_group_size: 1
    .uses_dynamic_stack: false
    .vgpr_count:     35
    .vgpr_spill_count: 0
    .wavefront_size: 32
    .workgroup_processor_mode: 1
  - .args:
      - .offset:         0
        .size:           4
        .value_kind:     by_value
      - .offset:         4
        .size:           4
        .value_kind:     by_value
      - .actual_access:  read_only
        .address_space:  global
        .offset:         8
        .size:           8
        .value_kind:     global_buffer
      - .actual_access:  read_only
        .address_space:  global
        .offset:         16
        .size:           8
        .value_kind:     global_buffer
      - .actual_access:  read_only
        .address_space:  global
        .offset:         24
        .size:           8
        .value_kind:     global_buffer
      - .actual_access:  read_only
        .address_space:  global
        .offset:         32
        .size:           8
        .value_kind:     global_buffer
      - .offset:         40
        .size:           4
        .value_kind:     by_value
      - .actual_access:  read_only
        .address_space:  global
        .offset:         48
        .size:           8
        .value_kind:     global_buffer
      - .actual_access:  read_only
        .address_space:  global
        .offset:         56
        .size:           8
        .value_kind:     global_buffer
      - .actual_access:  read_only
        .address_space:  global
        .offset:         64
        .size:           8
        .value_kind:     global_buffer
      - .address_space:  global
        .offset:         72
        .size:           8
        .value_kind:     global_buffer
      - .offset:         80
        .size:           4
        .value_kind:     by_value
      - .actual_access:  read_only
        .address_space:  global
        .offset:         88
        .size:           8
        .value_kind:     global_buffer
      - .actual_access:  read_only
        .address_space:  global
        .offset:         96
        .size:           8
        .value_kind:     global_buffer
      - .actual_access:  read_only
        .address_space:  global
        .offset:         104
        .size:           8
        .value_kind:     global_buffer
      - .address_space:  global
        .offset:         112
        .size:           8
        .value_kind:     global_buffer
      - .offset:         120
        .size:           4
        .value_kind:     by_value
      - .address_space:  global
        .offset:         128
        .size:           8
        .value_kind:     global_buffer
      - .address_space:  global
        .offset:         136
        .size:           8
        .value_kind:     global_buffer
      - .address_space:  global
        .offset:         144
        .size:           8
        .value_kind:     global_buffer
    .group_segment_fixed_size: 256
    .kernarg_segment_align: 8
    .kernarg_segment_size: 152
    .language:       OpenCL C
    .language_version:
      - 2
      - 0
    .max_flat_workgroup_size: 1024
    .name:           _ZN9rocsparseL17kernel_correctionILi1024ELi16E21rocsparse_complex_numIfEiiEEvT3_T2_PKS4_S6_PKS3_PKT1_21rocsparse_index_base_S6_S6_S8_PS9_SC_S6_S6_S8_SD_SC_SD_PNS_15floating_traitsIS9_E6data_tEPKSG_
    .private_segment_fixed_size: 0
    .sgpr_count:     54
    .sgpr_spill_count: 0
    .symbol:         _ZN9rocsparseL17kernel_correctionILi1024ELi16E21rocsparse_complex_numIfEiiEEvT3_T2_PKS4_S6_PKS3_PKT1_21rocsparse_index_base_S6_S6_S8_PS9_SC_S6_S6_S8_SD_SC_SD_PNS_15floating_traitsIS9_E6data_tEPKSG_.kd
    .uniform_work_group_size: 1
    .uses_dynamic_stack: false
    .vgpr_count:     35
    .vgpr_spill_count: 0
    .wavefront_size: 32
    .workgroup_processor_mode: 1
  - .args:
      - .offset:         0
        .size:           4
        .value_kind:     by_value
      - .offset:         4
        .size:           4
        .value_kind:     by_value
      - .actual_access:  read_only
        .address_space:  global
        .offset:         8
        .size:           8
        .value_kind:     global_buffer
      - .actual_access:  read_only
        .address_space:  global
        .offset:         16
        .size:           8
        .value_kind:     global_buffer
      - .actual_access:  read_only
        .address_space:  global
        .offset:         24
        .size:           8
        .value_kind:     global_buffer
      - .actual_access:  read_only
        .address_space:  global
        .offset:         32
        .size:           8
        .value_kind:     global_buffer
      - .offset:         40
        .size:           4
        .value_kind:     by_value
      - .actual_access:  read_only
        .address_space:  global
        .offset:         48
        .size:           8
        .value_kind:     global_buffer
      - .actual_access:  read_only
        .address_space:  global
        .offset:         56
        .size:           8
        .value_kind:     global_buffer
      - .actual_access:  read_only
        .address_space:  global
        .offset:         64
        .size:           8
        .value_kind:     global_buffer
      - .address_space:  global
        .offset:         72
        .size:           8
        .value_kind:     global_buffer
      - .offset:         80
        .size:           4
        .value_kind:     by_value
      - .actual_access:  read_only
        .address_space:  global
        .offset:         88
        .size:           8
        .value_kind:     global_buffer
      - .actual_access:  read_only
        .address_space:  global
        .offset:         96
        .size:           8
        .value_kind:     global_buffer
      - .actual_access:  read_only
        .address_space:  global
        .offset:         104
        .size:           8
        .value_kind:     global_buffer
      - .address_space:  global
        .offset:         112
        .size:           8
        .value_kind:     global_buffer
      - .offset:         120
        .size:           4
        .value_kind:     by_value
      - .address_space:  global
        .offset:         128
        .size:           8
        .value_kind:     global_buffer
      - .address_space:  global
        .offset:         136
        .size:           8
        .value_kind:     global_buffer
      - .address_space:  global
        .offset:         144
        .size:           8
        .value_kind:     global_buffer
    .group_segment_fixed_size: 128
    .kernarg_segment_align: 8
    .kernarg_segment_size: 152
    .language:       OpenCL C
    .language_version:
      - 2
      - 0
    .max_flat_workgroup_size: 1024
    .name:           _ZN9rocsparseL17kernel_correctionILi1024ELi32E21rocsparse_complex_numIfEiiEEvT3_T2_PKS4_S6_PKS3_PKT1_21rocsparse_index_base_S6_S6_S8_PS9_SC_S6_S6_S8_SD_SC_SD_PNS_15floating_traitsIS9_E6data_tEPKSG_
    .private_segment_fixed_size: 0
    .sgpr_count:     54
    .sgpr_spill_count: 0
    .symbol:         _ZN9rocsparseL17kernel_correctionILi1024ELi32E21rocsparse_complex_numIfEiiEEvT3_T2_PKS4_S6_PKS3_PKT1_21rocsparse_index_base_S6_S6_S8_PS9_SC_S6_S6_S8_SD_SC_SD_PNS_15floating_traitsIS9_E6data_tEPKSG_.kd
    .uniform_work_group_size: 1
    .uses_dynamic_stack: false
    .vgpr_count:     35
    .vgpr_spill_count: 0
    .wavefront_size: 32
    .workgroup_processor_mode: 1
  - .args:
      - .offset:         0
        .size:           4
        .value_kind:     by_value
      - .offset:         4
        .size:           4
        .value_kind:     by_value
      - .actual_access:  read_only
        .address_space:  global
        .offset:         8
        .size:           8
        .value_kind:     global_buffer
      - .actual_access:  read_only
        .address_space:  global
        .offset:         16
        .size:           8
        .value_kind:     global_buffer
      - .actual_access:  read_only
        .address_space:  global
        .offset:         24
        .size:           8
        .value_kind:     global_buffer
      - .actual_access:  read_only
        .address_space:  global
        .offset:         32
        .size:           8
        .value_kind:     global_buffer
      - .offset:         40
        .size:           4
        .value_kind:     by_value
      - .actual_access:  read_only
        .address_space:  global
        .offset:         48
        .size:           8
        .value_kind:     global_buffer
      - .actual_access:  read_only
        .address_space:  global
        .offset:         56
        .size:           8
        .value_kind:     global_buffer
      - .actual_access:  read_only
        .address_space:  global
        .offset:         64
        .size:           8
        .value_kind:     global_buffer
      - .address_space:  global
        .offset:         72
        .size:           8
        .value_kind:     global_buffer
      - .offset:         80
        .size:           4
        .value_kind:     by_value
      - .actual_access:  read_only
        .address_space:  global
        .offset:         88
        .size:           8
        .value_kind:     global_buffer
      - .actual_access:  read_only
        .address_space:  global
        .offset:         96
        .size:           8
        .value_kind:     global_buffer
      - .actual_access:  read_only
        .address_space:  global
        .offset:         104
        .size:           8
        .value_kind:     global_buffer
      - .address_space:  global
        .offset:         112
        .size:           8
        .value_kind:     global_buffer
      - .offset:         120
        .size:           4
        .value_kind:     by_value
      - .address_space:  global
        .offset:         128
        .size:           8
        .value_kind:     global_buffer
      - .address_space:  global
        .offset:         136
        .size:           8
        .value_kind:     global_buffer
      - .address_space:  global
        .offset:         144
        .size:           8
        .value_kind:     global_buffer
    .group_segment_fixed_size: 64
    .kernarg_segment_align: 8
    .kernarg_segment_size: 152
    .language:       OpenCL C
    .language_version:
      - 2
      - 0
    .max_flat_workgroup_size: 1024
    .name:           _ZN9rocsparseL17kernel_correctionILi1024ELi64E21rocsparse_complex_numIfEiiEEvT3_T2_PKS4_S6_PKS3_PKT1_21rocsparse_index_base_S6_S6_S8_PS9_SC_S6_S6_S8_SD_SC_SD_PNS_15floating_traitsIS9_E6data_tEPKSG_
    .private_segment_fixed_size: 0
    .sgpr_count:     54
    .sgpr_spill_count: 0
    .symbol:         _ZN9rocsparseL17kernel_correctionILi1024ELi64E21rocsparse_complex_numIfEiiEEvT3_T2_PKS4_S6_PKS3_PKT1_21rocsparse_index_base_S6_S6_S8_PS9_SC_S6_S6_S8_SD_SC_SD_PNS_15floating_traitsIS9_E6data_tEPKSG_.kd
    .uniform_work_group_size: 1
    .uses_dynamic_stack: false
    .vgpr_count:     35
    .vgpr_spill_count: 0
    .wavefront_size: 32
    .workgroup_processor_mode: 1
  - .args:
      - .offset:         0
        .size:           4
        .value_kind:     by_value
      - .offset:         4
        .size:           4
        .value_kind:     by_value
      - .actual_access:  read_only
        .address_space:  global
        .offset:         8
        .size:           8
        .value_kind:     global_buffer
      - .actual_access:  read_only
        .address_space:  global
        .offset:         16
        .size:           8
        .value_kind:     global_buffer
      - .actual_access:  read_only
        .address_space:  global
        .offset:         24
        .size:           8
        .value_kind:     global_buffer
      - .actual_access:  read_only
        .address_space:  global
        .offset:         32
        .size:           8
        .value_kind:     global_buffer
      - .offset:         40
        .size:           4
        .value_kind:     by_value
      - .actual_access:  read_only
        .address_space:  global
        .offset:         48
        .size:           8
        .value_kind:     global_buffer
      - .actual_access:  read_only
        .address_space:  global
        .offset:         56
        .size:           8
        .value_kind:     global_buffer
      - .actual_access:  read_only
        .address_space:  global
        .offset:         64
        .size:           8
        .value_kind:     global_buffer
      - .address_space:  global
        .offset:         72
        .size:           8
        .value_kind:     global_buffer
      - .offset:         80
        .size:           4
        .value_kind:     by_value
      - .actual_access:  read_only
        .address_space:  global
        .offset:         88
        .size:           8
        .value_kind:     global_buffer
      - .actual_access:  read_only
        .address_space:  global
        .offset:         96
        .size:           8
        .value_kind:     global_buffer
      - .actual_access:  read_only
        .address_space:  global
        .offset:         104
        .size:           8
        .value_kind:     global_buffer
      - .address_space:  global
        .offset:         112
        .size:           8
        .value_kind:     global_buffer
      - .offset:         120
        .size:           4
        .value_kind:     by_value
      - .address_space:  global
        .offset:         128
        .size:           8
        .value_kind:     global_buffer
    .group_segment_fixed_size: 0
    .kernarg_segment_align: 8
    .kernarg_segment_size: 136
    .language:       OpenCL C
    .language_version:
      - 2
      - 0
    .max_flat_workgroup_size: 1024
    .name:           _ZN9rocsparseL25kernel_correction_no_normILi1024ELi1E21rocsparse_complex_numIdEiiEEvT3_T2_PKS4_S6_PKS3_PKT1_21rocsparse_index_base_S6_S6_S8_PS9_SC_S6_S6_S8_SD_SC_SD_
    .private_segment_fixed_size: 0
    .sgpr_count:     49
    .sgpr_spill_count: 0
    .symbol:         _ZN9rocsparseL25kernel_correction_no_normILi1024ELi1E21rocsparse_complex_numIdEiiEEvT3_T2_PKS4_S6_PKS3_PKT1_21rocsparse_index_base_S6_S6_S8_PS9_SC_S6_S6_S8_SD_SC_SD_.kd
    .uniform_work_group_size: 1
    .uses_dynamic_stack: false
    .vgpr_count:     36
    .vgpr_spill_count: 0
    .wavefront_size: 32
    .workgroup_processor_mode: 1
  - .args:
      - .offset:         0
        .size:           4
        .value_kind:     by_value
      - .offset:         4
        .size:           4
        .value_kind:     by_value
      - .actual_access:  read_only
        .address_space:  global
        .offset:         8
        .size:           8
        .value_kind:     global_buffer
      - .actual_access:  read_only
        .address_space:  global
        .offset:         16
        .size:           8
        .value_kind:     global_buffer
      - .actual_access:  read_only
        .address_space:  global
        .offset:         24
        .size:           8
        .value_kind:     global_buffer
      - .actual_access:  read_only
        .address_space:  global
        .offset:         32
        .size:           8
        .value_kind:     global_buffer
      - .offset:         40
        .size:           4
        .value_kind:     by_value
      - .actual_access:  read_only
        .address_space:  global
        .offset:         48
        .size:           8
        .value_kind:     global_buffer
      - .actual_access:  read_only
        .address_space:  global
        .offset:         56
        .size:           8
        .value_kind:     global_buffer
      - .actual_access:  read_only
        .address_space:  global
        .offset:         64
        .size:           8
        .value_kind:     global_buffer
      - .address_space:  global
        .offset:         72
        .size:           8
        .value_kind:     global_buffer
      - .offset:         80
        .size:           4
        .value_kind:     by_value
      - .actual_access:  read_only
        .address_space:  global
        .offset:         88
        .size:           8
        .value_kind:     global_buffer
      - .actual_access:  read_only
        .address_space:  global
        .offset:         96
        .size:           8
        .value_kind:     global_buffer
      - .actual_access:  read_only
        .address_space:  global
        .offset:         104
        .size:           8
        .value_kind:     global_buffer
      - .address_space:  global
        .offset:         112
        .size:           8
        .value_kind:     global_buffer
      - .offset:         120
        .size:           4
        .value_kind:     by_value
      - .address_space:  global
        .offset:         128
        .size:           8
        .value_kind:     global_buffer
    .group_segment_fixed_size: 0
    .kernarg_segment_align: 8
    .kernarg_segment_size: 136
    .language:       OpenCL C
    .language_version:
      - 2
      - 0
    .max_flat_workgroup_size: 1024
    .name:           _ZN9rocsparseL25kernel_correction_no_normILi1024ELi2E21rocsparse_complex_numIdEiiEEvT3_T2_PKS4_S6_PKS3_PKT1_21rocsparse_index_base_S6_S6_S8_PS9_SC_S6_S6_S8_SD_SC_SD_
    .private_segment_fixed_size: 0
    .sgpr_count:     49
    .sgpr_spill_count: 0
    .symbol:         _ZN9rocsparseL25kernel_correction_no_normILi1024ELi2E21rocsparse_complex_numIdEiiEEvT3_T2_PKS4_S6_PKS3_PKT1_21rocsparse_index_base_S6_S6_S8_PS9_SC_S6_S6_S8_SD_SC_SD_.kd
    .uniform_work_group_size: 1
    .uses_dynamic_stack: false
    .vgpr_count:     37
    .vgpr_spill_count: 0
    .wavefront_size: 32
    .workgroup_processor_mode: 1
  - .args:
      - .offset:         0
        .size:           4
        .value_kind:     by_value
      - .offset:         4
        .size:           4
        .value_kind:     by_value
      - .actual_access:  read_only
        .address_space:  global
        .offset:         8
        .size:           8
        .value_kind:     global_buffer
      - .actual_access:  read_only
        .address_space:  global
        .offset:         16
        .size:           8
        .value_kind:     global_buffer
      - .actual_access:  read_only
        .address_space:  global
        .offset:         24
        .size:           8
        .value_kind:     global_buffer
      - .actual_access:  read_only
        .address_space:  global
        .offset:         32
        .size:           8
        .value_kind:     global_buffer
      - .offset:         40
        .size:           4
        .value_kind:     by_value
      - .actual_access:  read_only
        .address_space:  global
        .offset:         48
        .size:           8
        .value_kind:     global_buffer
      - .actual_access:  read_only
        .address_space:  global
        .offset:         56
        .size:           8
        .value_kind:     global_buffer
      - .actual_access:  read_only
        .address_space:  global
        .offset:         64
        .size:           8
        .value_kind:     global_buffer
      - .address_space:  global
        .offset:         72
        .size:           8
        .value_kind:     global_buffer
      - .offset:         80
        .size:           4
        .value_kind:     by_value
      - .actual_access:  read_only
        .address_space:  global
        .offset:         88
        .size:           8
        .value_kind:     global_buffer
      - .actual_access:  read_only
        .address_space:  global
        .offset:         96
        .size:           8
        .value_kind:     global_buffer
      - .actual_access:  read_only
        .address_space:  global
        .offset:         104
        .size:           8
        .value_kind:     global_buffer
      - .address_space:  global
        .offset:         112
        .size:           8
        .value_kind:     global_buffer
      - .offset:         120
        .size:           4
        .value_kind:     by_value
      - .address_space:  global
        .offset:         128
        .size:           8
        .value_kind:     global_buffer
    .group_segment_fixed_size: 0
    .kernarg_segment_align: 8
    .kernarg_segment_size: 136
    .language:       OpenCL C
    .language_version:
      - 2
      - 0
    .max_flat_workgroup_size: 1024
    .name:           _ZN9rocsparseL25kernel_correction_no_normILi1024ELi4E21rocsparse_complex_numIdEiiEEvT3_T2_PKS4_S6_PKS3_PKT1_21rocsparse_index_base_S6_S6_S8_PS9_SC_S6_S6_S8_SD_SC_SD_
    .private_segment_fixed_size: 0
    .sgpr_count:     49
    .sgpr_spill_count: 0
    .symbol:         _ZN9rocsparseL25kernel_correction_no_normILi1024ELi4E21rocsparse_complex_numIdEiiEEvT3_T2_PKS4_S6_PKS3_PKT1_21rocsparse_index_base_S6_S6_S8_PS9_SC_S6_S6_S8_SD_SC_SD_.kd
    .uniform_work_group_size: 1
    .uses_dynamic_stack: false
    .vgpr_count:     37
    .vgpr_spill_count: 0
    .wavefront_size: 32
    .workgroup_processor_mode: 1
  - .args:
      - .offset:         0
        .size:           4
        .value_kind:     by_value
      - .offset:         4
        .size:           4
        .value_kind:     by_value
      - .actual_access:  read_only
        .address_space:  global
        .offset:         8
        .size:           8
        .value_kind:     global_buffer
      - .actual_access:  read_only
        .address_space:  global
        .offset:         16
        .size:           8
        .value_kind:     global_buffer
      - .actual_access:  read_only
        .address_space:  global
        .offset:         24
        .size:           8
        .value_kind:     global_buffer
      - .actual_access:  read_only
        .address_space:  global
        .offset:         32
        .size:           8
        .value_kind:     global_buffer
      - .offset:         40
        .size:           4
        .value_kind:     by_value
      - .actual_access:  read_only
        .address_space:  global
        .offset:         48
        .size:           8
        .value_kind:     global_buffer
      - .actual_access:  read_only
        .address_space:  global
        .offset:         56
        .size:           8
        .value_kind:     global_buffer
      - .actual_access:  read_only
        .address_space:  global
        .offset:         64
        .size:           8
        .value_kind:     global_buffer
      - .address_space:  global
        .offset:         72
        .size:           8
        .value_kind:     global_buffer
      - .offset:         80
        .size:           4
        .value_kind:     by_value
      - .actual_access:  read_only
        .address_space:  global
        .offset:         88
        .size:           8
        .value_kind:     global_buffer
      - .actual_access:  read_only
        .address_space:  global
        .offset:         96
        .size:           8
        .value_kind:     global_buffer
      - .actual_access:  read_only
        .address_space:  global
        .offset:         104
        .size:           8
        .value_kind:     global_buffer
      - .address_space:  global
        .offset:         112
        .size:           8
        .value_kind:     global_buffer
      - .offset:         120
        .size:           4
        .value_kind:     by_value
      - .address_space:  global
        .offset:         128
        .size:           8
        .value_kind:     global_buffer
    .group_segment_fixed_size: 0
    .kernarg_segment_align: 8
    .kernarg_segment_size: 136
    .language:       OpenCL C
    .language_version:
      - 2
      - 0
    .max_flat_workgroup_size: 1024
    .name:           _ZN9rocsparseL25kernel_correction_no_normILi1024ELi8E21rocsparse_complex_numIdEiiEEvT3_T2_PKS4_S6_PKS3_PKT1_21rocsparse_index_base_S6_S6_S8_PS9_SC_S6_S6_S8_SD_SC_SD_
    .private_segment_fixed_size: 0
    .sgpr_count:     49
    .sgpr_spill_count: 0
    .symbol:         _ZN9rocsparseL25kernel_correction_no_normILi1024ELi8E21rocsparse_complex_numIdEiiEEvT3_T2_PKS4_S6_PKS3_PKT1_21rocsparse_index_base_S6_S6_S8_PS9_SC_S6_S6_S8_SD_SC_SD_.kd
    .uniform_work_group_size: 1
    .uses_dynamic_stack: false
    .vgpr_count:     37
    .vgpr_spill_count: 0
    .wavefront_size: 32
    .workgroup_processor_mode: 1
  - .args:
      - .offset:         0
        .size:           4
        .value_kind:     by_value
      - .offset:         4
        .size:           4
        .value_kind:     by_value
      - .actual_access:  read_only
        .address_space:  global
        .offset:         8
        .size:           8
        .value_kind:     global_buffer
      - .actual_access:  read_only
        .address_space:  global
        .offset:         16
        .size:           8
        .value_kind:     global_buffer
      - .actual_access:  read_only
        .address_space:  global
        .offset:         24
        .size:           8
        .value_kind:     global_buffer
      - .actual_access:  read_only
        .address_space:  global
        .offset:         32
        .size:           8
        .value_kind:     global_buffer
      - .offset:         40
        .size:           4
        .value_kind:     by_value
      - .actual_access:  read_only
        .address_space:  global
        .offset:         48
        .size:           8
        .value_kind:     global_buffer
      - .actual_access:  read_only
        .address_space:  global
        .offset:         56
        .size:           8
        .value_kind:     global_buffer
      - .actual_access:  read_only
        .address_space:  global
        .offset:         64
        .size:           8
        .value_kind:     global_buffer
      - .address_space:  global
        .offset:         72
        .size:           8
        .value_kind:     global_buffer
      - .offset:         80
        .size:           4
        .value_kind:     by_value
      - .actual_access:  read_only
        .address_space:  global
        .offset:         88
        .size:           8
        .value_kind:     global_buffer
      - .actual_access:  read_only
        .address_space:  global
        .offset:         96
        .size:           8
        .value_kind:     global_buffer
      - .actual_access:  read_only
        .address_space:  global
        .offset:         104
        .size:           8
        .value_kind:     global_buffer
      - .address_space:  global
        .offset:         112
        .size:           8
        .value_kind:     global_buffer
      - .offset:         120
        .size:           4
        .value_kind:     by_value
      - .address_space:  global
        .offset:         128
        .size:           8
        .value_kind:     global_buffer
    .group_segment_fixed_size: 0
    .kernarg_segment_align: 8
    .kernarg_segment_size: 136
    .language:       OpenCL C
    .language_version:
      - 2
      - 0
    .max_flat_workgroup_size: 1024
    .name:           _ZN9rocsparseL25kernel_correction_no_normILi1024ELi16E21rocsparse_complex_numIdEiiEEvT3_T2_PKS4_S6_PKS3_PKT1_21rocsparse_index_base_S6_S6_S8_PS9_SC_S6_S6_S8_SD_SC_SD_
    .private_segment_fixed_size: 0
    .sgpr_count:     49
    .sgpr_spill_count: 0
    .symbol:         _ZN9rocsparseL25kernel_correction_no_normILi1024ELi16E21rocsparse_complex_numIdEiiEEvT3_T2_PKS4_S6_PKS3_PKT1_21rocsparse_index_base_S6_S6_S8_PS9_SC_S6_S6_S8_SD_SC_SD_.kd
    .uniform_work_group_size: 1
    .uses_dynamic_stack: false
    .vgpr_count:     37
    .vgpr_spill_count: 0
    .wavefront_size: 32
    .workgroup_processor_mode: 1
  - .args:
      - .offset:         0
        .size:           4
        .value_kind:     by_value
      - .offset:         4
        .size:           4
        .value_kind:     by_value
      - .actual_access:  read_only
        .address_space:  global
        .offset:         8
        .size:           8
        .value_kind:     global_buffer
      - .actual_access:  read_only
        .address_space:  global
        .offset:         16
        .size:           8
        .value_kind:     global_buffer
      - .actual_access:  read_only
        .address_space:  global
        .offset:         24
        .size:           8
        .value_kind:     global_buffer
      - .actual_access:  read_only
        .address_space:  global
        .offset:         32
        .size:           8
        .value_kind:     global_buffer
      - .offset:         40
        .size:           4
        .value_kind:     by_value
      - .actual_access:  read_only
        .address_space:  global
        .offset:         48
        .size:           8
        .value_kind:     global_buffer
      - .actual_access:  read_only
        .address_space:  global
        .offset:         56
        .size:           8
        .value_kind:     global_buffer
      - .actual_access:  read_only
        .address_space:  global
        .offset:         64
        .size:           8
        .value_kind:     global_buffer
      - .address_space:  global
        .offset:         72
        .size:           8
        .value_kind:     global_buffer
      - .offset:         80
        .size:           4
        .value_kind:     by_value
      - .actual_access:  read_only
        .address_space:  global
        .offset:         88
        .size:           8
        .value_kind:     global_buffer
      - .actual_access:  read_only
        .address_space:  global
        .offset:         96
        .size:           8
        .value_kind:     global_buffer
      - .actual_access:  read_only
        .address_space:  global
        .offset:         104
        .size:           8
        .value_kind:     global_buffer
      - .address_space:  global
        .offset:         112
        .size:           8
        .value_kind:     global_buffer
      - .offset:         120
        .size:           4
        .value_kind:     by_value
      - .address_space:  global
        .offset:         128
        .size:           8
        .value_kind:     global_buffer
    .group_segment_fixed_size: 0
    .kernarg_segment_align: 8
    .kernarg_segment_size: 136
    .language:       OpenCL C
    .language_version:
      - 2
      - 0
    .max_flat_workgroup_size: 1024
    .name:           _ZN9rocsparseL25kernel_correction_no_normILi1024ELi32E21rocsparse_complex_numIdEiiEEvT3_T2_PKS4_S6_PKS3_PKT1_21rocsparse_index_base_S6_S6_S8_PS9_SC_S6_S6_S8_SD_SC_SD_
    .private_segment_fixed_size: 0
    .sgpr_count:     49
    .sgpr_spill_count: 0
    .symbol:         _ZN9rocsparseL25kernel_correction_no_normILi1024ELi32E21rocsparse_complex_numIdEiiEEvT3_T2_PKS4_S6_PKS3_PKT1_21rocsparse_index_base_S6_S6_S8_PS9_SC_S6_S6_S8_SD_SC_SD_.kd
    .uniform_work_group_size: 1
    .uses_dynamic_stack: false
    .vgpr_count:     37
    .vgpr_spill_count: 0
    .wavefront_size: 32
    .workgroup_processor_mode: 1
  - .args:
      - .offset:         0
        .size:           4
        .value_kind:     by_value
      - .offset:         4
        .size:           4
        .value_kind:     by_value
      - .actual_access:  read_only
        .address_space:  global
        .offset:         8
        .size:           8
        .value_kind:     global_buffer
      - .actual_access:  read_only
        .address_space:  global
        .offset:         16
        .size:           8
        .value_kind:     global_buffer
      - .actual_access:  read_only
        .address_space:  global
        .offset:         24
        .size:           8
        .value_kind:     global_buffer
      - .actual_access:  read_only
        .address_space:  global
        .offset:         32
        .size:           8
        .value_kind:     global_buffer
      - .offset:         40
        .size:           4
        .value_kind:     by_value
      - .actual_access:  read_only
        .address_space:  global
        .offset:         48
        .size:           8
        .value_kind:     global_buffer
      - .actual_access:  read_only
        .address_space:  global
        .offset:         56
        .size:           8
        .value_kind:     global_buffer
      - .actual_access:  read_only
        .address_space:  global
        .offset:         64
        .size:           8
        .value_kind:     global_buffer
      - .address_space:  global
        .offset:         72
        .size:           8
        .value_kind:     global_buffer
      - .offset:         80
        .size:           4
        .value_kind:     by_value
      - .actual_access:  read_only
        .address_space:  global
        .offset:         88
        .size:           8
        .value_kind:     global_buffer
      - .actual_access:  read_only
        .address_space:  global
        .offset:         96
        .size:           8
        .value_kind:     global_buffer
      - .actual_access:  read_only
        .address_space:  global
        .offset:         104
        .size:           8
        .value_kind:     global_buffer
      - .address_space:  global
        .offset:         112
        .size:           8
        .value_kind:     global_buffer
      - .offset:         120
        .size:           4
        .value_kind:     by_value
      - .address_space:  global
        .offset:         128
        .size:           8
        .value_kind:     global_buffer
    .group_segment_fixed_size: 0
    .kernarg_segment_align: 8
    .kernarg_segment_size: 136
    .language:       OpenCL C
    .language_version:
      - 2
      - 0
    .max_flat_workgroup_size: 1024
    .name:           _ZN9rocsparseL25kernel_correction_no_normILi1024ELi64E21rocsparse_complex_numIdEiiEEvT3_T2_PKS4_S6_PKS3_PKT1_21rocsparse_index_base_S6_S6_S8_PS9_SC_S6_S6_S8_SD_SC_SD_
    .private_segment_fixed_size: 0
    .sgpr_count:     49
    .sgpr_spill_count: 0
    .symbol:         _ZN9rocsparseL25kernel_correction_no_normILi1024ELi64E21rocsparse_complex_numIdEiiEEvT3_T2_PKS4_S6_PKS3_PKT1_21rocsparse_index_base_S6_S6_S8_PS9_SC_S6_S6_S8_SD_SC_SD_.kd
    .uniform_work_group_size: 1
    .uses_dynamic_stack: false
    .vgpr_count:     37
    .vgpr_spill_count: 0
    .wavefront_size: 32
    .workgroup_processor_mode: 1
  - .args:
      - .offset:         0
        .size:           4
        .value_kind:     by_value
      - .offset:         4
        .size:           4
        .value_kind:     by_value
      - .actual_access:  read_only
        .address_space:  global
        .offset:         8
        .size:           8
        .value_kind:     global_buffer
      - .actual_access:  read_only
        .address_space:  global
        .offset:         16
        .size:           8
        .value_kind:     global_buffer
      - .actual_access:  read_only
        .address_space:  global
        .offset:         24
        .size:           8
        .value_kind:     global_buffer
      - .actual_access:  read_only
        .address_space:  global
        .offset:         32
        .size:           8
        .value_kind:     global_buffer
      - .offset:         40
        .size:           4
        .value_kind:     by_value
      - .actual_access:  read_only
        .address_space:  global
        .offset:         48
        .size:           8
        .value_kind:     global_buffer
      - .actual_access:  read_only
        .address_space:  global
        .offset:         56
        .size:           8
        .value_kind:     global_buffer
      - .actual_access:  read_only
        .address_space:  global
        .offset:         64
        .size:           8
        .value_kind:     global_buffer
      - .address_space:  global
        .offset:         72
        .size:           8
        .value_kind:     global_buffer
      - .offset:         80
        .size:           4
        .value_kind:     by_value
      - .actual_access:  read_only
        .address_space:  global
        .offset:         88
        .size:           8
        .value_kind:     global_buffer
      - .actual_access:  read_only
        .address_space:  global
        .offset:         96
        .size:           8
        .value_kind:     global_buffer
      - .actual_access:  read_only
        .address_space:  global
        .offset:         104
        .size:           8
        .value_kind:     global_buffer
      - .address_space:  global
        .offset:         112
        .size:           8
        .value_kind:     global_buffer
      - .offset:         120
        .size:           4
        .value_kind:     by_value
      - .address_space:  global
        .offset:         128
        .size:           8
        .value_kind:     global_buffer
      - .address_space:  global
        .offset:         136
        .size:           8
        .value_kind:     global_buffer
      - .address_space:  global
        .offset:         144
        .size:           8
        .value_kind:     global_buffer
    .group_segment_fixed_size: 8192
    .kernarg_segment_align: 8
    .kernarg_segment_size: 152
    .language:       OpenCL C
    .language_version:
      - 2
      - 0
    .max_flat_workgroup_size: 1024
    .name:           _ZN9rocsparseL17kernel_correctionILi1024ELi1E21rocsparse_complex_numIdEiiEEvT3_T2_PKS4_S6_PKS3_PKT1_21rocsparse_index_base_S6_S6_S8_PS9_SC_S6_S6_S8_SD_SC_SD_PNS_15floating_traitsIS9_E6data_tEPKSG_
    .private_segment_fixed_size: 0
    .sgpr_count:     54
    .sgpr_spill_count: 0
    .symbol:         _ZN9rocsparseL17kernel_correctionILi1024ELi1E21rocsparse_complex_numIdEiiEEvT3_T2_PKS4_S6_PKS3_PKT1_21rocsparse_index_base_S6_S6_S8_PS9_SC_S6_S6_S8_SD_SC_SD_PNS_15floating_traitsIS9_E6data_tEPKSG_.kd
    .uniform_work_group_size: 1
    .uses_dynamic_stack: false
    .vgpr_count:     46
    .vgpr_spill_count: 0
    .wavefront_size: 32
    .workgroup_processor_mode: 1
  - .args:
      - .offset:         0
        .size:           4
        .value_kind:     by_value
      - .offset:         4
        .size:           4
        .value_kind:     by_value
      - .actual_access:  read_only
        .address_space:  global
        .offset:         8
        .size:           8
        .value_kind:     global_buffer
      - .actual_access:  read_only
        .address_space:  global
        .offset:         16
        .size:           8
        .value_kind:     global_buffer
      - .actual_access:  read_only
        .address_space:  global
        .offset:         24
        .size:           8
        .value_kind:     global_buffer
      - .actual_access:  read_only
        .address_space:  global
        .offset:         32
        .size:           8
        .value_kind:     global_buffer
      - .offset:         40
        .size:           4
        .value_kind:     by_value
      - .actual_access:  read_only
        .address_space:  global
        .offset:         48
        .size:           8
        .value_kind:     global_buffer
      - .actual_access:  read_only
        .address_space:  global
        .offset:         56
        .size:           8
        .value_kind:     global_buffer
      - .actual_access:  read_only
        .address_space:  global
        .offset:         64
        .size:           8
        .value_kind:     global_buffer
      - .address_space:  global
        .offset:         72
        .size:           8
        .value_kind:     global_buffer
      - .offset:         80
        .size:           4
        .value_kind:     by_value
      - .actual_access:  read_only
        .address_space:  global
        .offset:         88
        .size:           8
        .value_kind:     global_buffer
      - .actual_access:  read_only
        .address_space:  global
        .offset:         96
        .size:           8
        .value_kind:     global_buffer
      - .actual_access:  read_only
        .address_space:  global
        .offset:         104
        .size:           8
        .value_kind:     global_buffer
      - .address_space:  global
        .offset:         112
        .size:           8
        .value_kind:     global_buffer
      - .offset:         120
        .size:           4
        .value_kind:     by_value
      - .address_space:  global
        .offset:         128
        .size:           8
        .value_kind:     global_buffer
      - .address_space:  global
        .offset:         136
        .size:           8
        .value_kind:     global_buffer
      - .address_space:  global
        .offset:         144
        .size:           8
        .value_kind:     global_buffer
    .group_segment_fixed_size: 4096
    .kernarg_segment_align: 8
    .kernarg_segment_size: 152
    .language:       OpenCL C
    .language_version:
      - 2
      - 0
    .max_flat_workgroup_size: 1024
    .name:           _ZN9rocsparseL17kernel_correctionILi1024ELi2E21rocsparse_complex_numIdEiiEEvT3_T2_PKS4_S6_PKS3_PKT1_21rocsparse_index_base_S6_S6_S8_PS9_SC_S6_S6_S8_SD_SC_SD_PNS_15floating_traitsIS9_E6data_tEPKSG_
    .private_segment_fixed_size: 0
    .sgpr_count:     54
    .sgpr_spill_count: 0
    .symbol:         _ZN9rocsparseL17kernel_correctionILi1024ELi2E21rocsparse_complex_numIdEiiEEvT3_T2_PKS4_S6_PKS3_PKT1_21rocsparse_index_base_S6_S6_S8_PS9_SC_S6_S6_S8_SD_SC_SD_PNS_15floating_traitsIS9_E6data_tEPKSG_.kd
    .uniform_work_group_size: 1
    .uses_dynamic_stack: false
    .vgpr_count:     49
    .vgpr_spill_count: 0
    .wavefront_size: 32
    .workgroup_processor_mode: 1
  - .args:
      - .offset:         0
        .size:           4
        .value_kind:     by_value
      - .offset:         4
        .size:           4
        .value_kind:     by_value
      - .actual_access:  read_only
        .address_space:  global
        .offset:         8
        .size:           8
        .value_kind:     global_buffer
      - .actual_access:  read_only
        .address_space:  global
        .offset:         16
        .size:           8
        .value_kind:     global_buffer
      - .actual_access:  read_only
        .address_space:  global
        .offset:         24
        .size:           8
        .value_kind:     global_buffer
      - .actual_access:  read_only
        .address_space:  global
        .offset:         32
        .size:           8
        .value_kind:     global_buffer
      - .offset:         40
        .size:           4
        .value_kind:     by_value
      - .actual_access:  read_only
        .address_space:  global
        .offset:         48
        .size:           8
        .value_kind:     global_buffer
      - .actual_access:  read_only
        .address_space:  global
        .offset:         56
        .size:           8
        .value_kind:     global_buffer
      - .actual_access:  read_only
        .address_space:  global
        .offset:         64
        .size:           8
        .value_kind:     global_buffer
      - .address_space:  global
        .offset:         72
        .size:           8
        .value_kind:     global_buffer
      - .offset:         80
        .size:           4
        .value_kind:     by_value
      - .actual_access:  read_only
        .address_space:  global
        .offset:         88
        .size:           8
        .value_kind:     global_buffer
      - .actual_access:  read_only
        .address_space:  global
        .offset:         96
        .size:           8
        .value_kind:     global_buffer
      - .actual_access:  read_only
        .address_space:  global
        .offset:         104
        .size:           8
        .value_kind:     global_buffer
      - .address_space:  global
        .offset:         112
        .size:           8
        .value_kind:     global_buffer
      - .offset:         120
        .size:           4
        .value_kind:     by_value
      - .address_space:  global
        .offset:         128
        .size:           8
        .value_kind:     global_buffer
      - .address_space:  global
        .offset:         136
        .size:           8
        .value_kind:     global_buffer
      - .address_space:  global
        .offset:         144
        .size:           8
        .value_kind:     global_buffer
    .group_segment_fixed_size: 2048
    .kernarg_segment_align: 8
    .kernarg_segment_size: 152
    .language:       OpenCL C
    .language_version:
      - 2
      - 0
    .max_flat_workgroup_size: 1024
    .name:           _ZN9rocsparseL17kernel_correctionILi1024ELi4E21rocsparse_complex_numIdEiiEEvT3_T2_PKS4_S6_PKS3_PKT1_21rocsparse_index_base_S6_S6_S8_PS9_SC_S6_S6_S8_SD_SC_SD_PNS_15floating_traitsIS9_E6data_tEPKSG_
    .private_segment_fixed_size: 0
    .sgpr_count:     54
    .sgpr_spill_count: 0
    .symbol:         _ZN9rocsparseL17kernel_correctionILi1024ELi4E21rocsparse_complex_numIdEiiEEvT3_T2_PKS4_S6_PKS3_PKT1_21rocsparse_index_base_S6_S6_S8_PS9_SC_S6_S6_S8_SD_SC_SD_PNS_15floating_traitsIS9_E6data_tEPKSG_.kd
    .uniform_work_group_size: 1
    .uses_dynamic_stack: false
    .vgpr_count:     49
    .vgpr_spill_count: 0
    .wavefront_size: 32
    .workgroup_processor_mode: 1
  - .args:
      - .offset:         0
        .size:           4
        .value_kind:     by_value
      - .offset:         4
        .size:           4
        .value_kind:     by_value
      - .actual_access:  read_only
        .address_space:  global
        .offset:         8
        .size:           8
        .value_kind:     global_buffer
      - .actual_access:  read_only
        .address_space:  global
        .offset:         16
        .size:           8
        .value_kind:     global_buffer
      - .actual_access:  read_only
        .address_space:  global
        .offset:         24
        .size:           8
        .value_kind:     global_buffer
      - .actual_access:  read_only
        .address_space:  global
        .offset:         32
        .size:           8
        .value_kind:     global_buffer
      - .offset:         40
        .size:           4
        .value_kind:     by_value
      - .actual_access:  read_only
        .address_space:  global
        .offset:         48
        .size:           8
        .value_kind:     global_buffer
      - .actual_access:  read_only
        .address_space:  global
        .offset:         56
        .size:           8
        .value_kind:     global_buffer
      - .actual_access:  read_only
        .address_space:  global
        .offset:         64
        .size:           8
        .value_kind:     global_buffer
      - .address_space:  global
        .offset:         72
        .size:           8
        .value_kind:     global_buffer
      - .offset:         80
        .size:           4
        .value_kind:     by_value
      - .actual_access:  read_only
        .address_space:  global
        .offset:         88
        .size:           8
        .value_kind:     global_buffer
      - .actual_access:  read_only
        .address_space:  global
        .offset:         96
        .size:           8
        .value_kind:     global_buffer
      - .actual_access:  read_only
        .address_space:  global
        .offset:         104
        .size:           8
        .value_kind:     global_buffer
      - .address_space:  global
        .offset:         112
        .size:           8
        .value_kind:     global_buffer
      - .offset:         120
        .size:           4
        .value_kind:     by_value
      - .address_space:  global
        .offset:         128
        .size:           8
        .value_kind:     global_buffer
      - .address_space:  global
        .offset:         136
        .size:           8
        .value_kind:     global_buffer
      - .address_space:  global
        .offset:         144
        .size:           8
        .value_kind:     global_buffer
    .group_segment_fixed_size: 1024
    .kernarg_segment_align: 8
    .kernarg_segment_size: 152
    .language:       OpenCL C
    .language_version:
      - 2
      - 0
    .max_flat_workgroup_size: 1024
    .name:           _ZN9rocsparseL17kernel_correctionILi1024ELi8E21rocsparse_complex_numIdEiiEEvT3_T2_PKS4_S6_PKS3_PKT1_21rocsparse_index_base_S6_S6_S8_PS9_SC_S6_S6_S8_SD_SC_SD_PNS_15floating_traitsIS9_E6data_tEPKSG_
    .private_segment_fixed_size: 0
    .sgpr_count:     54
    .sgpr_spill_count: 0
    .symbol:         _ZN9rocsparseL17kernel_correctionILi1024ELi8E21rocsparse_complex_numIdEiiEEvT3_T2_PKS4_S6_PKS3_PKT1_21rocsparse_index_base_S6_S6_S8_PS9_SC_S6_S6_S8_SD_SC_SD_PNS_15floating_traitsIS9_E6data_tEPKSG_.kd
    .uniform_work_group_size: 1
    .uses_dynamic_stack: false
    .vgpr_count:     49
    .vgpr_spill_count: 0
    .wavefront_size: 32
    .workgroup_processor_mode: 1
  - .args:
      - .offset:         0
        .size:           4
        .value_kind:     by_value
      - .offset:         4
        .size:           4
        .value_kind:     by_value
      - .actual_access:  read_only
        .address_space:  global
        .offset:         8
        .size:           8
        .value_kind:     global_buffer
      - .actual_access:  read_only
        .address_space:  global
        .offset:         16
        .size:           8
        .value_kind:     global_buffer
      - .actual_access:  read_only
        .address_space:  global
        .offset:         24
        .size:           8
        .value_kind:     global_buffer
      - .actual_access:  read_only
        .address_space:  global
        .offset:         32
        .size:           8
        .value_kind:     global_buffer
      - .offset:         40
        .size:           4
        .value_kind:     by_value
      - .actual_access:  read_only
        .address_space:  global
        .offset:         48
        .size:           8
        .value_kind:     global_buffer
      - .actual_access:  read_only
        .address_space:  global
        .offset:         56
        .size:           8
        .value_kind:     global_buffer
      - .actual_access:  read_only
        .address_space:  global
        .offset:         64
        .size:           8
        .value_kind:     global_buffer
      - .address_space:  global
        .offset:         72
        .size:           8
        .value_kind:     global_buffer
      - .offset:         80
        .size:           4
        .value_kind:     by_value
      - .actual_access:  read_only
        .address_space:  global
        .offset:         88
        .size:           8
        .value_kind:     global_buffer
      - .actual_access:  read_only
        .address_space:  global
        .offset:         96
        .size:           8
        .value_kind:     global_buffer
      - .actual_access:  read_only
        .address_space:  global
        .offset:         104
        .size:           8
        .value_kind:     global_buffer
      - .address_space:  global
        .offset:         112
        .size:           8
        .value_kind:     global_buffer
      - .offset:         120
        .size:           4
        .value_kind:     by_value
      - .address_space:  global
        .offset:         128
        .size:           8
        .value_kind:     global_buffer
      - .address_space:  global
        .offset:         136
        .size:           8
        .value_kind:     global_buffer
      - .address_space:  global
        .offset:         144
        .size:           8
        .value_kind:     global_buffer
    .group_segment_fixed_size: 512
    .kernarg_segment_align: 8
    .kernarg_segment_size: 152
    .language:       OpenCL C
    .language_version:
      - 2
      - 0
    .max_flat_workgroup_size: 1024
    .name:           _ZN9rocsparseL17kernel_correctionILi1024ELi16E21rocsparse_complex_numIdEiiEEvT3_T2_PKS4_S6_PKS3_PKT1_21rocsparse_index_base_S6_S6_S8_PS9_SC_S6_S6_S8_SD_SC_SD_PNS_15floating_traitsIS9_E6data_tEPKSG_
    .private_segment_fixed_size: 0
    .sgpr_count:     54
    .sgpr_spill_count: 0
    .symbol:         _ZN9rocsparseL17kernel_correctionILi1024ELi16E21rocsparse_complex_numIdEiiEEvT3_T2_PKS4_S6_PKS3_PKT1_21rocsparse_index_base_S6_S6_S8_PS9_SC_S6_S6_S8_SD_SC_SD_PNS_15floating_traitsIS9_E6data_tEPKSG_.kd
    .uniform_work_group_size: 1
    .uses_dynamic_stack: false
    .vgpr_count:     49
    .vgpr_spill_count: 0
    .wavefront_size: 32
    .workgroup_processor_mode: 1
  - .args:
      - .offset:         0
        .size:           4
        .value_kind:     by_value
      - .offset:         4
        .size:           4
        .value_kind:     by_value
      - .actual_access:  read_only
        .address_space:  global
        .offset:         8
        .size:           8
        .value_kind:     global_buffer
      - .actual_access:  read_only
        .address_space:  global
        .offset:         16
        .size:           8
        .value_kind:     global_buffer
      - .actual_access:  read_only
        .address_space:  global
        .offset:         24
        .size:           8
        .value_kind:     global_buffer
      - .actual_access:  read_only
        .address_space:  global
        .offset:         32
        .size:           8
        .value_kind:     global_buffer
      - .offset:         40
        .size:           4
        .value_kind:     by_value
      - .actual_access:  read_only
        .address_space:  global
        .offset:         48
        .size:           8
        .value_kind:     global_buffer
      - .actual_access:  read_only
        .address_space:  global
        .offset:         56
        .size:           8
        .value_kind:     global_buffer
      - .actual_access:  read_only
        .address_space:  global
        .offset:         64
        .size:           8
        .value_kind:     global_buffer
      - .address_space:  global
        .offset:         72
        .size:           8
        .value_kind:     global_buffer
      - .offset:         80
        .size:           4
        .value_kind:     by_value
      - .actual_access:  read_only
        .address_space:  global
        .offset:         88
        .size:           8
        .value_kind:     global_buffer
      - .actual_access:  read_only
        .address_space:  global
        .offset:         96
        .size:           8
        .value_kind:     global_buffer
      - .actual_access:  read_only
        .address_space:  global
        .offset:         104
        .size:           8
        .value_kind:     global_buffer
      - .address_space:  global
        .offset:         112
        .size:           8
        .value_kind:     global_buffer
      - .offset:         120
        .size:           4
        .value_kind:     by_value
      - .address_space:  global
        .offset:         128
        .size:           8
        .value_kind:     global_buffer
      - .address_space:  global
        .offset:         136
        .size:           8
        .value_kind:     global_buffer
      - .address_space:  global
        .offset:         144
        .size:           8
        .value_kind:     global_buffer
    .group_segment_fixed_size: 256
    .kernarg_segment_align: 8
    .kernarg_segment_size: 152
    .language:       OpenCL C
    .language_version:
      - 2
      - 0
    .max_flat_workgroup_size: 1024
    .name:           _ZN9rocsparseL17kernel_correctionILi1024ELi32E21rocsparse_complex_numIdEiiEEvT3_T2_PKS4_S6_PKS3_PKT1_21rocsparse_index_base_S6_S6_S8_PS9_SC_S6_S6_S8_SD_SC_SD_PNS_15floating_traitsIS9_E6data_tEPKSG_
    .private_segment_fixed_size: 0
    .sgpr_count:     54
    .sgpr_spill_count: 0
    .symbol:         _ZN9rocsparseL17kernel_correctionILi1024ELi32E21rocsparse_complex_numIdEiiEEvT3_T2_PKS4_S6_PKS3_PKT1_21rocsparse_index_base_S6_S6_S8_PS9_SC_S6_S6_S8_SD_SC_SD_PNS_15floating_traitsIS9_E6data_tEPKSG_.kd
    .uniform_work_group_size: 1
    .uses_dynamic_stack: false
    .vgpr_count:     49
    .vgpr_spill_count: 0
    .wavefront_size: 32
    .workgroup_processor_mode: 1
  - .args:
      - .offset:         0
        .size:           4
        .value_kind:     by_value
      - .offset:         4
        .size:           4
        .value_kind:     by_value
      - .actual_access:  read_only
        .address_space:  global
        .offset:         8
        .size:           8
        .value_kind:     global_buffer
      - .actual_access:  read_only
        .address_space:  global
        .offset:         16
        .size:           8
        .value_kind:     global_buffer
      - .actual_access:  read_only
        .address_space:  global
        .offset:         24
        .size:           8
        .value_kind:     global_buffer
      - .actual_access:  read_only
        .address_space:  global
        .offset:         32
        .size:           8
        .value_kind:     global_buffer
      - .offset:         40
        .size:           4
        .value_kind:     by_value
      - .actual_access:  read_only
        .address_space:  global
        .offset:         48
        .size:           8
        .value_kind:     global_buffer
      - .actual_access:  read_only
        .address_space:  global
        .offset:         56
        .size:           8
        .value_kind:     global_buffer
      - .actual_access:  read_only
        .address_space:  global
        .offset:         64
        .size:           8
        .value_kind:     global_buffer
      - .address_space:  global
        .offset:         72
        .size:           8
        .value_kind:     global_buffer
      - .offset:         80
        .size:           4
        .value_kind:     by_value
      - .actual_access:  read_only
        .address_space:  global
        .offset:         88
        .size:           8
        .value_kind:     global_buffer
      - .actual_access:  read_only
        .address_space:  global
        .offset:         96
        .size:           8
        .value_kind:     global_buffer
      - .actual_access:  read_only
        .address_space:  global
        .offset:         104
        .size:           8
        .value_kind:     global_buffer
      - .address_space:  global
        .offset:         112
        .size:           8
        .value_kind:     global_buffer
      - .offset:         120
        .size:           4
        .value_kind:     by_value
      - .address_space:  global
        .offset:         128
        .size:           8
        .value_kind:     global_buffer
      - .address_space:  global
        .offset:         136
        .size:           8
        .value_kind:     global_buffer
      - .address_space:  global
        .offset:         144
        .size:           8
        .value_kind:     global_buffer
    .group_segment_fixed_size: 128
    .kernarg_segment_align: 8
    .kernarg_segment_size: 152
    .language:       OpenCL C
    .language_version:
      - 2
      - 0
    .max_flat_workgroup_size: 1024
    .name:           _ZN9rocsparseL17kernel_correctionILi1024ELi64E21rocsparse_complex_numIdEiiEEvT3_T2_PKS4_S6_PKS3_PKT1_21rocsparse_index_base_S6_S6_S8_PS9_SC_S6_S6_S8_SD_SC_SD_PNS_15floating_traitsIS9_E6data_tEPKSG_
    .private_segment_fixed_size: 0
    .sgpr_count:     54
    .sgpr_spill_count: 0
    .symbol:         _ZN9rocsparseL17kernel_correctionILi1024ELi64E21rocsparse_complex_numIdEiiEEvT3_T2_PKS4_S6_PKS3_PKT1_21rocsparse_index_base_S6_S6_S8_PS9_SC_S6_S6_S8_SD_SC_SD_PNS_15floating_traitsIS9_E6data_tEPKSG_.kd
    .uniform_work_group_size: 1
    .uses_dynamic_stack: false
    .vgpr_count:     49
    .vgpr_spill_count: 0
    .wavefront_size: 32
    .workgroup_processor_mode: 1
amdhsa.target:   amdgcn-amd-amdhsa--gfx1030
amdhsa.version:
  - 1
  - 2
...

	.end_amdgpu_metadata
